;; amdgpu-corpus repo=zjin-lcf/HeCBench kind=compiled arch=gfx906 opt=O3
	.amdgcn_target "amdgcn-amd-amdhsa--gfx906"
	.amdhsa_code_object_version 6
	.text
	.protected	_Z14Padding_kerneliiiifPdPKdPi ; -- Begin function _Z14Padding_kerneliiiifPdPKdPi
	.globl	_Z14Padding_kerneliiiifPdPKdPi
	.p2align	8
	.type	_Z14Padding_kerneliiiifPdPKdPi,@function
_Z14Padding_kerneliiiifPdPKdPi:         ; @_Z14Padding_kerneliiiifPdPKdPi
; %bb.0:
	s_mov_b64 s[30:31], s[2:3]
	s_mov_b64 s[28:29], s[0:1]
	s_load_dwordx4 s[8:11], s[4:5], 0x0
	s_load_dword s0, s[4:5], 0x10
	s_add_u32 s28, s28, s7
	s_addc_u32 s29, s29, 0
	s_waitcnt lgkmcnt(0)
	v_cvt_f32_i32_e32 v1, s11
	v_mul_f32_e32 v1, s0, v1
	v_cvt_i32_f32_e32 v1, v1
	v_readfirstlane_b32 s0, v1
	s_add_i32 s6, s0, s6
	s_cmp_ge_i32 s6, s11
	s_cbranch_scc1 .LBB0_138
; %bb.1:
	s_load_dword s0, s[4:5], 0x3c
	s_load_dword s23, s[4:5], 0x30
	s_add_i32 s10, s10, s8
	s_mul_i32 s9, s10, s9
	s_load_dwordx4 s[12:15], s[4:5], 0x18
	s_load_dwordx2 s[16:17], s[4:5], 0x28
	s_waitcnt lgkmcnt(0)
	s_and_b32 s20, s0, 0xffff
	s_lshl_b32 s0, s20, 5
	v_cvt_f32_u32_e32 v1, s0
	s_sub_i32 s21, 0, s0
	s_add_i32 s1, s9, s0
	s_add_i32 s1, s1, -1
	v_rcp_iflag_f32_e32 v1, v1
	v_cmp_eq_u32_e32 vcc, 0, v0
	v_mov_b32_e32 v24, 0
	v_mul_f32_e32 v1, 0x4f7ffffe, v1
	v_cvt_u32_f32_e32 v1, v1
	v_readfirstlane_b32 s2, v1
	s_mul_i32 s3, s21, s2
	s_mul_hi_u32 s3, s2, s3
	s_add_i32 s2, s2, s3
	s_mul_hi_u32 s2, s1, s2
	s_mul_i32 s2, s2, s0
	s_sub_i32 s2, s1, s2
	s_sub_i32 s3, s2, s0
	s_cmp_ge_u32 s2, s0
	s_cselect_b32 s2, s3, s2
	s_sub_i32 s3, s2, s0
	s_cmp_ge_u32 s2, s0
	s_cselect_b32 s0, s3, s2
	s_abs_i32 s22, s10
	v_cvt_f32_u32_e32 v1, s22
	s_sub_i32 s2, 0, s22
	s_not_b32 s0, s0
	v_sub_u32_e32 v0, s0, v0
	v_rcp_iflag_f32_e32 v1, v1
	s_ashr_i32 s24, s10, 31
	v_add_u32_e32 v8, s1, v0
	v_mul_f32_e32 v1, 0x4f7ffffe, v1
	v_cvt_u32_f32_e32 v1, v1
	v_mul_lo_u32 v2, s2, v1
	v_mul_hi_u32 v2, v1, v2
	v_add_u32_e32 v34, v1, v2
	s_branch .LBB0_3
.LBB0_2:                                ;   in Loop: Header=BB0_3 Depth=1
	s_or_b64 exec, exec, s[2:3]
	s_add_i32 s6, s6, s23
	s_cmp_ge_i32 s6, s11
	s_cbranch_scc1 .LBB0_138
.LBB0_3:                                ; =>This Loop Header: Depth=1
                                        ;     Child Loop BB0_70 Depth 2
	s_mul_i32 s0, s21, s6
	v_add_u32_e32 v23, s0, v8
	v_sub_u32_e32 v0, 0, v23
	v_max_i32_e32 v0, v23, v0
	v_mul_hi_u32 v1, v0, v34
	v_ashrrev_i32_e32 v3, 31, v23
	v_xor_b32_e32 v3, s24, v3
	v_mul_lo_u32 v2, v1, s22
	v_add_u32_e32 v4, 1, v1
	v_sub_u32_e32 v0, v0, v2
	v_cmp_le_u32_e64 s[0:1], s22, v0
	v_subrev_u32_e32 v2, s22, v0
	v_cndmask_b32_e64 v1, v1, v4, s[0:1]
	v_cndmask_b32_e64 v0, v0, v2, s[0:1]
	v_add_u32_e32 v2, 1, v1
	v_cmp_le_u32_e64 s[0:1], s22, v0
	v_cndmask_b32_e64 v0, v1, v2, s[0:1]
	v_xor_b32_e32 v0, v0, v3
	v_sub_u32_e32 v0, v0, v3
	v_mul_lo_u32 v1, v0, s10
	v_sub_u32_e32 v2, v23, v1
	v_mad_u64_u32 v[0:1], s[0:1], v0, s8, v[2:3]
	v_cmp_gt_i32_e64 s[0:1], s8, v2
	v_mov_b32_e32 v3, 0
	v_cmp_gt_i32_e64 s[4:5], s9, v0
	v_cmp_lt_i32_e64 s[2:3], -1, v0
	s_and_b64 s[0:1], s[0:1], s[4:5]
	v_mov_b32_e32 v1, 0
	v_mov_b32_e32 v4, 0
	;; [unrolled: 1-line block ×3, first 2 shown]
	s_and_b64 s[0:1], s[0:1], s[2:3]
	buffer_store_dword v3, off, s[28:31], 0 ; 4-byte Folded Spill
	s_nop 0
	buffer_store_dword v4, off, s[28:31], 0 offset:4 ; 4-byte Folded Spill
	buffer_store_dword v1, off, s[28:31], 0 offset:8 ; 4-byte Folded Spill
	s_nop 0
	buffer_store_dword v2, off, s[28:31], 0 offset:12 ; 4-byte Folded Spill
	s_and_saveexec_b64 s[2:3], s[0:1]
	s_cbranch_execz .LBB0_5
; %bb.4:                                ;   in Loop: Header=BB0_3 Depth=1
	v_mov_b32_e32 v1, v24
	v_lshlrev_b64 v[0:1], 3, v[0:1]
	v_mov_b32_e32 v2, s15
	v_add_co_u32_e64 v0, s[0:1], s14, v0
	v_addc_co_u32_e64 v1, s[0:1], v2, v1, s[0:1]
	global_load_dwordx2 v[0:1], v[0:1], off
	s_waitcnt vmcnt(0)
	buffer_store_dword v0, off, s[28:31], 0 offset:8 ; 4-byte Folded Spill
	s_nop 0
	buffer_store_dword v1, off, s[28:31], 0 offset:12 ; 4-byte Folded Spill
.LBB0_5:                                ;   in Loop: Header=BB0_3 Depth=1
	s_or_b64 exec, exec, s[2:3]
	v_subrev_u32_e32 v5, s20, v23
	v_sub_u32_e32 v0, 0, v5
	v_max_i32_e32 v0, v5, v0
	v_mul_hi_u32 v1, v0, v34
	v_ashrrev_i32_e32 v3, 31, v5
	v_xor_b32_e32 v3, s24, v3
	v_mul_lo_u32 v2, v1, s22
	v_add_u32_e32 v4, 1, v1
	v_sub_u32_e32 v0, v0, v2
	v_cmp_le_u32_e64 s[0:1], s22, v0
	v_subrev_u32_e32 v2, s22, v0
	v_cndmask_b32_e64 v1, v1, v4, s[0:1]
	v_cndmask_b32_e64 v0, v0, v2, s[0:1]
	v_add_u32_e32 v2, 1, v1
	v_cmp_le_u32_e64 s[0:1], s22, v0
	v_cndmask_b32_e64 v0, v1, v2, s[0:1]
	v_xor_b32_e32 v0, v0, v3
	v_sub_u32_e32 v0, v0, v3
	v_mul_lo_u32 v1, v0, s10
	v_sub_u32_e32 v2, v5, v1
	v_mad_u64_u32 v[0:1], s[0:1], v0, s8, v[2:3]
	v_cmp_gt_i32_e64 s[0:1], s8, v2
	v_cmp_gt_i32_e64 s[4:5], s9, v0
	v_cmp_lt_i32_e64 s[2:3], -1, v0
	s_and_b64 s[0:1], s[0:1], s[4:5]
	s_and_b64 s[0:1], s[0:1], s[2:3]
	s_and_saveexec_b64 s[2:3], s[0:1]
	s_cbranch_execz .LBB0_7
; %bb.6:                                ;   in Loop: Header=BB0_3 Depth=1
	v_mov_b32_e32 v1, v24
	v_lshlrev_b64 v[0:1], 3, v[0:1]
	v_mov_b32_e32 v2, s15
	v_add_co_u32_e64 v0, s[0:1], s14, v0
	v_addc_co_u32_e64 v1, s[0:1], v2, v1, s[0:1]
	global_load_dwordx2 v[0:1], v[0:1], off
	s_waitcnt vmcnt(0)
	buffer_store_dword v0, off, s[28:31], 0 ; 4-byte Folded Spill
	s_nop 0
	buffer_store_dword v1, off, s[28:31], 0 offset:4 ; 4-byte Folded Spill
.LBB0_7:                                ;   in Loop: Header=BB0_3 Depth=1
	s_or_b64 exec, exec, s[2:3]
	v_subrev_u32_e32 v14, s20, v5
	v_sub_u32_e32 v0, 0, v14
	v_max_i32_e32 v0, v14, v0
	v_mul_hi_u32 v1, v0, v34
	v_ashrrev_i32_e32 v3, 31, v14
	v_xor_b32_e32 v3, s24, v3
	v_mov_b32_e32 v40, 0
	v_mul_lo_u32 v2, v1, s22
	v_add_u32_e32 v4, 1, v1
	v_mov_b32_e32 v47, 0
	v_mov_b32_e32 v10, v5
	v_sub_u32_e32 v0, v0, v2
	v_cmp_le_u32_e64 s[0:1], s22, v0
	v_subrev_u32_e32 v2, s22, v0
	v_cndmask_b32_e64 v1, v1, v4, s[0:1]
	v_cndmask_b32_e64 v0, v0, v2, s[0:1]
	v_add_u32_e32 v2, 1, v1
	v_cmp_le_u32_e64 s[0:1], s22, v0
	v_cndmask_b32_e64 v0, v1, v2, s[0:1]
	v_xor_b32_e32 v0, v0, v3
	v_sub_u32_e32 v0, v0, v3
	v_mul_lo_u32 v1, v0, s10
	v_mov_b32_e32 v41, 0
	v_mov_b32_e32 v48, 0
	v_sub_u32_e32 v2, v14, v1
	v_mad_u64_u32 v[0:1], s[0:1], v0, s8, v[2:3]
	v_cmp_gt_i32_e64 s[0:1], s8, v2
	v_cmp_gt_i32_e64 s[4:5], s9, v0
	v_cmp_lt_i32_e64 s[2:3], -1, v0
	s_and_b64 s[0:1], s[0:1], s[4:5]
	s_and_b64 s[0:1], s[0:1], s[2:3]
	s_and_saveexec_b64 s[2:3], s[0:1]
	s_cbranch_execz .LBB0_9
; %bb.8:                                ;   in Loop: Header=BB0_3 Depth=1
	v_mov_b32_e32 v1, v24
	v_lshlrev_b64 v[0:1], 3, v[0:1]
	v_mov_b32_e32 v2, s15
	v_add_co_u32_e64 v0, s[0:1], s14, v0
	v_addc_co_u32_e64 v1, s[0:1], v2, v1, s[0:1]
	global_load_dwordx2 v[47:48], v[0:1], off
.LBB0_9:                                ;   in Loop: Header=BB0_3 Depth=1
	s_or_b64 exec, exec, s[2:3]
	v_subrev_u32_e32 v19, s20, v14
	v_sub_u32_e32 v0, 0, v19
	v_max_i32_e32 v0, v19, v0
	v_mul_hi_u32 v1, v0, v34
	v_ashrrev_i32_e32 v3, 31, v19
	v_xor_b32_e32 v3, s24, v3
	v_mul_lo_u32 v2, v1, s22
	v_add_u32_e32 v4, 1, v1
	v_sub_u32_e32 v0, v0, v2
	v_cmp_le_u32_e64 s[0:1], s22, v0
	v_subrev_u32_e32 v2, s22, v0
	v_cndmask_b32_e64 v1, v1, v4, s[0:1]
	v_cndmask_b32_e64 v0, v0, v2, s[0:1]
	v_add_u32_e32 v2, 1, v1
	v_cmp_le_u32_e64 s[0:1], s22, v0
	v_cndmask_b32_e64 v0, v1, v2, s[0:1]
	v_xor_b32_e32 v0, v0, v3
	v_sub_u32_e32 v0, v0, v3
	v_mul_lo_u32 v1, v0, s10
	v_sub_u32_e32 v2, v19, v1
	v_mad_u64_u32 v[0:1], s[0:1], v0, s8, v[2:3]
	v_cmp_gt_i32_e64 s[0:1], s8, v2
	v_cmp_gt_i32_e64 s[4:5], s9, v0
	v_cmp_lt_i32_e64 s[2:3], -1, v0
	s_and_b64 s[0:1], s[0:1], s[4:5]
	s_and_b64 s[0:1], s[0:1], s[2:3]
	s_and_saveexec_b64 s[2:3], s[0:1]
	s_cbranch_execz .LBB0_11
; %bb.10:                               ;   in Loop: Header=BB0_3 Depth=1
	v_mov_b32_e32 v1, v24
	v_lshlrev_b64 v[0:1], 3, v[0:1]
	v_mov_b32_e32 v2, s15
	v_add_co_u32_e64 v0, s[0:1], s14, v0
	v_addc_co_u32_e64 v1, s[0:1], v2, v1, s[0:1]
	global_load_dwordx2 v[40:41], v[0:1], off
.LBB0_11:                               ;   in Loop: Header=BB0_3 Depth=1
	s_or_b64 exec, exec, s[2:3]
	v_subrev_u32_e32 v26, s20, v19
	v_sub_u32_e32 v0, 0, v26
	v_max_i32_e32 v0, v26, v0
	v_mul_hi_u32 v1, v0, v34
	v_ashrrev_i32_e32 v3, 31, v26
	v_xor_b32_e32 v3, s24, v3
	v_mov_b32_e32 v54, 0
	v_mul_lo_u32 v2, v1, s22
	v_add_u32_e32 v4, 1, v1
	v_mov_b32_e32 v55, 0
	v_sub_u32_e32 v0, v0, v2
	v_cmp_le_u32_e64 s[0:1], s22, v0
	v_subrev_u32_e32 v2, s22, v0
	v_cndmask_b32_e64 v1, v1, v4, s[0:1]
	v_cndmask_b32_e64 v0, v0, v2, s[0:1]
	v_add_u32_e32 v2, 1, v1
	v_cmp_le_u32_e64 s[0:1], s22, v0
	v_cndmask_b32_e64 v0, v1, v2, s[0:1]
	v_xor_b32_e32 v0, v0, v3
	v_sub_u32_e32 v0, v0, v3
	v_mul_lo_u32 v1, v0, s10
	v_sub_u32_e32 v2, v26, v1
	v_mad_u64_u32 v[0:1], s[0:1], v0, s8, v[2:3]
	v_cmp_gt_i32_e64 s[0:1], s8, v2
	v_mov_b32_e32 v1, 0
	v_cmp_gt_i32_e64 s[4:5], s9, v0
	v_cmp_lt_i32_e64 s[2:3], -1, v0
	s_and_b64 s[0:1], s[0:1], s[4:5]
	v_mov_b32_e32 v2, 0
	s_and_b64 s[0:1], s[0:1], s[2:3]
	buffer_store_dword v1, off, s[28:31], 0 offset:16 ; 4-byte Folded Spill
	s_nop 0
	buffer_store_dword v2, off, s[28:31], 0 offset:20 ; 4-byte Folded Spill
	s_and_saveexec_b64 s[2:3], s[0:1]
	s_cbranch_execz .LBB0_13
; %bb.12:                               ;   in Loop: Header=BB0_3 Depth=1
	v_mov_b32_e32 v1, v24
	v_lshlrev_b64 v[0:1], 3, v[0:1]
	v_mov_b32_e32 v2, s15
	v_add_co_u32_e64 v0, s[0:1], s14, v0
	v_addc_co_u32_e64 v1, s[0:1], v2, v1, s[0:1]
	global_load_dwordx2 v[0:1], v[0:1], off
	s_waitcnt vmcnt(0)
	buffer_store_dword v0, off, s[28:31], 0 offset:16 ; 4-byte Folded Spill
	s_nop 0
	buffer_store_dword v1, off, s[28:31], 0 offset:20 ; 4-byte Folded Spill
.LBB0_13:                               ;   in Loop: Header=BB0_3 Depth=1
	s_or_b64 exec, exec, s[2:3]
	v_subrev_u32_e32 v18, s20, v26
	v_sub_u32_e32 v0, 0, v18
	v_max_i32_e32 v0, v18, v0
	v_mul_hi_u32 v1, v0, v34
	v_ashrrev_i32_e32 v3, 31, v18
	v_xor_b32_e32 v3, s24, v3
	v_mul_lo_u32 v2, v1, s22
	v_add_u32_e32 v4, 1, v1
	v_sub_u32_e32 v0, v0, v2
	v_cmp_le_u32_e64 s[0:1], s22, v0
	v_subrev_u32_e32 v2, s22, v0
	v_cndmask_b32_e64 v1, v1, v4, s[0:1]
	v_cndmask_b32_e64 v0, v0, v2, s[0:1]
	v_add_u32_e32 v2, 1, v1
	v_cmp_le_u32_e64 s[0:1], s22, v0
	v_cndmask_b32_e64 v0, v1, v2, s[0:1]
	v_xor_b32_e32 v0, v0, v3
	v_sub_u32_e32 v0, v0, v3
	v_mul_lo_u32 v1, v0, s10
	v_sub_u32_e32 v2, v18, v1
	v_mad_u64_u32 v[0:1], s[0:1], v0, s8, v[2:3]
	v_cmp_gt_i32_e64 s[0:1], s8, v2
	v_cmp_gt_i32_e64 s[4:5], s9, v0
	v_cmp_lt_i32_e64 s[2:3], -1, v0
	s_and_b64 s[0:1], s[0:1], s[4:5]
	s_and_b64 s[0:1], s[0:1], s[2:3]
	s_and_saveexec_b64 s[2:3], s[0:1]
	s_cbranch_execz .LBB0_15
; %bb.14:                               ;   in Loop: Header=BB0_3 Depth=1
	v_mov_b32_e32 v1, v24
	v_lshlrev_b64 v[0:1], 3, v[0:1]
	v_mov_b32_e32 v2, s15
	v_add_co_u32_e64 v0, s[0:1], s14, v0
	v_addc_co_u32_e64 v1, s[0:1], v2, v1, s[0:1]
	global_load_dwordx2 v[54:55], v[0:1], off
.LBB0_15:                               ;   in Loop: Header=BB0_3 Depth=1
	s_or_b64 exec, exec, s[2:3]
	v_subrev_u32_e32 v21, s20, v18
	v_sub_u32_e32 v0, 0, v21
	v_max_i32_e32 v0, v21, v0
	v_mul_hi_u32 v1, v0, v34
	v_ashrrev_i32_e32 v3, 31, v21
	v_xor_b32_e32 v3, s24, v3
	v_mul_lo_u32 v2, v1, s22
	v_add_u32_e32 v4, 1, v1
	v_sub_u32_e32 v0, v0, v2
	v_cmp_le_u32_e64 s[0:1], s22, v0
	v_subrev_u32_e32 v2, s22, v0
	v_cndmask_b32_e64 v1, v1, v4, s[0:1]
	v_cndmask_b32_e64 v0, v0, v2, s[0:1]
	v_add_u32_e32 v2, 1, v1
	v_cmp_le_u32_e64 s[0:1], s22, v0
	v_cndmask_b32_e64 v0, v1, v2, s[0:1]
	v_xor_b32_e32 v0, v0, v3
	v_sub_u32_e32 v0, v0, v3
	v_mul_lo_u32 v1, v0, s10
	v_sub_u32_e32 v2, v21, v1
	v_mad_u64_u32 v[0:1], s[0:1], v0, s8, v[2:3]
	v_cmp_gt_i32_e64 s[0:1], s8, v2
	v_mov_b32_e32 v3, 0
	v_cmp_gt_i32_e64 s[4:5], s9, v0
	v_cmp_lt_i32_e64 s[2:3], -1, v0
	s_and_b64 s[0:1], s[0:1], s[4:5]
	v_mov_b32_e32 v1, 0
	v_mov_b32_e32 v4, 0
	;; [unrolled: 1-line block ×3, first 2 shown]
	s_and_b64 s[0:1], s[0:1], s[2:3]
	buffer_store_dword v3, off, s[28:31], 0 offset:24 ; 4-byte Folded Spill
	s_nop 0
	buffer_store_dword v4, off, s[28:31], 0 offset:28 ; 4-byte Folded Spill
	buffer_store_dword v1, off, s[28:31], 0 offset:32 ; 4-byte Folded Spill
	s_nop 0
	buffer_store_dword v2, off, s[28:31], 0 offset:36 ; 4-byte Folded Spill
	s_and_saveexec_b64 s[2:3], s[0:1]
	s_cbranch_execz .LBB0_17
; %bb.16:                               ;   in Loop: Header=BB0_3 Depth=1
	v_mov_b32_e32 v1, v24
	v_lshlrev_b64 v[0:1], 3, v[0:1]
	v_mov_b32_e32 v2, s15
	v_add_co_u32_e64 v0, s[0:1], s14, v0
	v_addc_co_u32_e64 v1, s[0:1], v2, v1, s[0:1]
	global_load_dwordx2 v[0:1], v[0:1], off
	s_waitcnt vmcnt(0)
	buffer_store_dword v0, off, s[28:31], 0 offset:32 ; 4-byte Folded Spill
	s_nop 0
	buffer_store_dword v1, off, s[28:31], 0 offset:36 ; 4-byte Folded Spill
.LBB0_17:                               ;   in Loop: Header=BB0_3 Depth=1
	s_or_b64 exec, exec, s[2:3]
	v_subrev_u32_e32 v25, s20, v21
	v_sub_u32_e32 v0, 0, v25
	v_max_i32_e32 v0, v25, v0
	v_mul_hi_u32 v1, v0, v34
	v_ashrrev_i32_e32 v3, 31, v25
	v_xor_b32_e32 v3, s24, v3
	v_mul_lo_u32 v2, v1, s22
	v_add_u32_e32 v4, 1, v1
	v_sub_u32_e32 v0, v0, v2
	v_cmp_le_u32_e64 s[0:1], s22, v0
	v_subrev_u32_e32 v2, s22, v0
	v_cndmask_b32_e64 v1, v1, v4, s[0:1]
	v_cndmask_b32_e64 v0, v0, v2, s[0:1]
	v_add_u32_e32 v2, 1, v1
	v_cmp_le_u32_e64 s[0:1], s22, v0
	v_cndmask_b32_e64 v0, v1, v2, s[0:1]
	v_xor_b32_e32 v0, v0, v3
	v_sub_u32_e32 v0, v0, v3
	v_mul_lo_u32 v1, v0, s10
	v_sub_u32_e32 v2, v25, v1
	v_mad_u64_u32 v[0:1], s[0:1], v0, s8, v[2:3]
	v_cmp_gt_i32_e64 s[0:1], s8, v2
	v_cmp_gt_i32_e64 s[4:5], s9, v0
	v_cmp_lt_i32_e64 s[2:3], -1, v0
	s_and_b64 s[0:1], s[0:1], s[4:5]
	s_and_b64 s[0:1], s[0:1], s[2:3]
	s_and_saveexec_b64 s[2:3], s[0:1]
	s_cbranch_execz .LBB0_19
; %bb.18:                               ;   in Loop: Header=BB0_3 Depth=1
	v_mov_b32_e32 v1, v24
	v_lshlrev_b64 v[0:1], 3, v[0:1]
	v_mov_b32_e32 v2, s15
	v_add_co_u32_e64 v0, s[0:1], s14, v0
	v_addc_co_u32_e64 v1, s[0:1], v2, v1, s[0:1]
	global_load_dwordx2 v[0:1], v[0:1], off
	s_waitcnt vmcnt(0)
	buffer_store_dword v0, off, s[28:31], 0 offset:24 ; 4-byte Folded Spill
	s_nop 0
	buffer_store_dword v1, off, s[28:31], 0 offset:28 ; 4-byte Folded Spill
.LBB0_19:                               ;   in Loop: Header=BB0_3 Depth=1
	s_or_b64 exec, exec, s[2:3]
	v_subrev_u32_e32 v28, s20, v25
	v_sub_u32_e32 v0, 0, v28
	v_max_i32_e32 v0, v28, v0
	v_mul_hi_u32 v1, v0, v34
	v_ashrrev_i32_e32 v3, 31, v28
	v_xor_b32_e32 v3, s24, v3
	v_mul_lo_u32 v2, v1, s22
	v_add_u32_e32 v4, 1, v1
	v_sub_u32_e32 v0, v0, v2
	v_cmp_le_u32_e64 s[0:1], s22, v0
	v_subrev_u32_e32 v2, s22, v0
	v_cndmask_b32_e64 v1, v1, v4, s[0:1]
	v_cndmask_b32_e64 v0, v0, v2, s[0:1]
	v_add_u32_e32 v2, 1, v1
	v_cmp_le_u32_e64 s[0:1], s22, v0
	v_cndmask_b32_e64 v0, v1, v2, s[0:1]
	v_xor_b32_e32 v0, v0, v3
	v_sub_u32_e32 v0, v0, v3
	v_mul_lo_u32 v1, v0, s10
	v_sub_u32_e32 v2, v28, v1
	v_mad_u64_u32 v[0:1], s[0:1], v0, s8, v[2:3]
	v_cmp_gt_i32_e64 s[0:1], s8, v2
	v_mov_b32_e32 v3, 0
	v_cmp_gt_i32_e64 s[4:5], s9, v0
	v_cmp_lt_i32_e64 s[2:3], -1, v0
	s_and_b64 s[0:1], s[0:1], s[4:5]
	v_mov_b32_e32 v1, 0
	v_mov_b32_e32 v4, 0
	;; [unrolled: 1-line block ×3, first 2 shown]
	s_and_b64 s[0:1], s[0:1], s[2:3]
	buffer_store_dword v3, off, s[28:31], 0 offset:40 ; 4-byte Folded Spill
	s_nop 0
	buffer_store_dword v4, off, s[28:31], 0 offset:44 ; 4-byte Folded Spill
	buffer_store_dword v1, off, s[28:31], 0 offset:48 ; 4-byte Folded Spill
	s_nop 0
	buffer_store_dword v2, off, s[28:31], 0 offset:52 ; 4-byte Folded Spill
	s_and_saveexec_b64 s[2:3], s[0:1]
	s_cbranch_execz .LBB0_21
; %bb.20:                               ;   in Loop: Header=BB0_3 Depth=1
	v_mov_b32_e32 v1, v24
	v_lshlrev_b64 v[0:1], 3, v[0:1]
	v_mov_b32_e32 v2, s15
	v_add_co_u32_e64 v0, s[0:1], s14, v0
	v_addc_co_u32_e64 v1, s[0:1], v2, v1, s[0:1]
	global_load_dwordx2 v[0:1], v[0:1], off
	s_waitcnt vmcnt(0)
	buffer_store_dword v0, off, s[28:31], 0 offset:48 ; 4-byte Folded Spill
	s_nop 0
	buffer_store_dword v1, off, s[28:31], 0 offset:52 ; 4-byte Folded Spill
.LBB0_21:                               ;   in Loop: Header=BB0_3 Depth=1
	s_or_b64 exec, exec, s[2:3]
	v_subrev_u32_e32 v32, s20, v28
	v_sub_u32_e32 v0, 0, v32
	v_max_i32_e32 v0, v32, v0
	v_mul_hi_u32 v1, v0, v34
	v_ashrrev_i32_e32 v3, 31, v32
	v_xor_b32_e32 v3, s24, v3
	v_mul_lo_u32 v2, v1, s22
	v_add_u32_e32 v4, 1, v1
	v_sub_u32_e32 v0, v0, v2
	v_cmp_le_u32_e64 s[0:1], s22, v0
	v_subrev_u32_e32 v2, s22, v0
	v_cndmask_b32_e64 v1, v1, v4, s[0:1]
	v_cndmask_b32_e64 v0, v0, v2, s[0:1]
	v_add_u32_e32 v2, 1, v1
	v_cmp_le_u32_e64 s[0:1], s22, v0
	v_cndmask_b32_e64 v0, v1, v2, s[0:1]
	v_xor_b32_e32 v0, v0, v3
	v_sub_u32_e32 v0, v0, v3
	v_mul_lo_u32 v1, v0, s10
	v_sub_u32_e32 v2, v32, v1
	v_mad_u64_u32 v[0:1], s[0:1], v0, s8, v[2:3]
	v_cmp_gt_i32_e64 s[0:1], s8, v2
	v_cmp_gt_i32_e64 s[4:5], s9, v0
	v_cmp_lt_i32_e64 s[2:3], -1, v0
	s_and_b64 s[0:1], s[0:1], s[4:5]
	s_and_b64 s[0:1], s[0:1], s[2:3]
	s_and_saveexec_b64 s[2:3], s[0:1]
	s_cbranch_execz .LBB0_23
; %bb.22:                               ;   in Loop: Header=BB0_3 Depth=1
	v_mov_b32_e32 v1, v24
	v_lshlrev_b64 v[0:1], 3, v[0:1]
	v_mov_b32_e32 v2, s15
	v_add_co_u32_e64 v0, s[0:1], s14, v0
	v_addc_co_u32_e64 v1, s[0:1], v2, v1, s[0:1]
	global_load_dwordx2 v[0:1], v[0:1], off
	s_waitcnt vmcnt(0)
	buffer_store_dword v0, off, s[28:31], 0 offset:40 ; 4-byte Folded Spill
	s_nop 0
	buffer_store_dword v1, off, s[28:31], 0 offset:44 ; 4-byte Folded Spill
.LBB0_23:                               ;   in Loop: Header=BB0_3 Depth=1
	s_or_b64 exec, exec, s[2:3]
	v_subrev_u32_e32 v35, s20, v32
	v_sub_u32_e32 v0, 0, v35
	v_max_i32_e32 v0, v35, v0
	v_mul_hi_u32 v1, v0, v34
	v_ashrrev_i32_e32 v3, 31, v35
	v_xor_b32_e32 v3, s24, v3
	v_mul_lo_u32 v2, v1, s22
	v_add_u32_e32 v4, 1, v1
	v_sub_u32_e32 v0, v0, v2
	v_cmp_le_u32_e64 s[0:1], s22, v0
	v_subrev_u32_e32 v2, s22, v0
	v_cndmask_b32_e64 v1, v1, v4, s[0:1]
	v_cndmask_b32_e64 v0, v0, v2, s[0:1]
	v_add_u32_e32 v2, 1, v1
	v_cmp_le_u32_e64 s[0:1], s22, v0
	v_cndmask_b32_e64 v0, v1, v2, s[0:1]
	v_xor_b32_e32 v0, v0, v3
	v_sub_u32_e32 v0, v0, v3
	v_mul_lo_u32 v1, v0, s10
	v_sub_u32_e32 v2, v35, v1
	v_mad_u64_u32 v[0:1], s[0:1], v0, s8, v[2:3]
	v_cmp_gt_i32_e64 s[0:1], s8, v2
	v_mov_b32_e32 v3, 0
	v_cmp_gt_i32_e64 s[4:5], s9, v0
	v_cmp_lt_i32_e64 s[2:3], -1, v0
	s_and_b64 s[0:1], s[0:1], s[4:5]
	v_mov_b32_e32 v1, 0
	v_mov_b32_e32 v4, 0
	;; [unrolled: 1-line block ×3, first 2 shown]
	s_and_b64 s[0:1], s[0:1], s[2:3]
	buffer_store_dword v3, off, s[28:31], 0 offset:56 ; 4-byte Folded Spill
	s_nop 0
	buffer_store_dword v4, off, s[28:31], 0 offset:60 ; 4-byte Folded Spill
	buffer_store_dword v1, off, s[28:31], 0 offset:64 ; 4-byte Folded Spill
	s_nop 0
	buffer_store_dword v2, off, s[28:31], 0 offset:68 ; 4-byte Folded Spill
	s_and_saveexec_b64 s[2:3], s[0:1]
	s_cbranch_execz .LBB0_25
; %bb.24:                               ;   in Loop: Header=BB0_3 Depth=1
	v_mov_b32_e32 v1, v24
	v_lshlrev_b64 v[0:1], 3, v[0:1]
	v_mov_b32_e32 v2, s15
	v_add_co_u32_e64 v0, s[0:1], s14, v0
	v_addc_co_u32_e64 v1, s[0:1], v2, v1, s[0:1]
	global_load_dwordx2 v[0:1], v[0:1], off
	s_waitcnt vmcnt(0)
	buffer_store_dword v0, off, s[28:31], 0 offset:64 ; 4-byte Folded Spill
	s_nop 0
	buffer_store_dword v1, off, s[28:31], 0 offset:68 ; 4-byte Folded Spill
.LBB0_25:                               ;   in Loop: Header=BB0_3 Depth=1
	s_or_b64 exec, exec, s[2:3]
	v_subrev_u32_e32 v39, s20, v35
	v_sub_u32_e32 v0, 0, v39
	v_max_i32_e32 v0, v39, v0
	v_mul_hi_u32 v1, v0, v34
	v_ashrrev_i32_e32 v3, 31, v39
	v_xor_b32_e32 v3, s24, v3
	v_mul_lo_u32 v2, v1, s22
	v_add_u32_e32 v4, 1, v1
	v_sub_u32_e32 v0, v0, v2
	v_cmp_le_u32_e64 s[0:1], s22, v0
	v_subrev_u32_e32 v2, s22, v0
	v_cndmask_b32_e64 v1, v1, v4, s[0:1]
	v_cndmask_b32_e64 v0, v0, v2, s[0:1]
	v_add_u32_e32 v2, 1, v1
	v_cmp_le_u32_e64 s[0:1], s22, v0
	v_cndmask_b32_e64 v0, v1, v2, s[0:1]
	v_xor_b32_e32 v0, v0, v3
	v_sub_u32_e32 v0, v0, v3
	v_mul_lo_u32 v1, v0, s10
	v_sub_u32_e32 v2, v39, v1
	v_mad_u64_u32 v[0:1], s[0:1], v0, s8, v[2:3]
	v_cmp_gt_i32_e64 s[0:1], s8, v2
	v_cmp_gt_i32_e64 s[4:5], s9, v0
	v_cmp_lt_i32_e64 s[2:3], -1, v0
	s_and_b64 s[0:1], s[0:1], s[4:5]
	s_and_b64 s[0:1], s[0:1], s[2:3]
	s_and_saveexec_b64 s[2:3], s[0:1]
	s_cbranch_execz .LBB0_27
; %bb.26:                               ;   in Loop: Header=BB0_3 Depth=1
	v_mov_b32_e32 v1, v24
	v_lshlrev_b64 v[0:1], 3, v[0:1]
	v_mov_b32_e32 v2, s15
	v_add_co_u32_e64 v0, s[0:1], s14, v0
	v_addc_co_u32_e64 v1, s[0:1], v2, v1, s[0:1]
	global_load_dwordx2 v[0:1], v[0:1], off
	s_waitcnt vmcnt(0)
	buffer_store_dword v0, off, s[28:31], 0 offset:56 ; 4-byte Folded Spill
	s_nop 0
	buffer_store_dword v1, off, s[28:31], 0 offset:60 ; 4-byte Folded Spill
.LBB0_27:                               ;   in Loop: Header=BB0_3 Depth=1
	s_or_b64 exec, exec, s[2:3]
	v_subrev_u32_e32 v42, s20, v39
	v_sub_u32_e32 v0, 0, v42
	v_max_i32_e32 v0, v42, v0
	v_mul_hi_u32 v1, v0, v34
	v_ashrrev_i32_e32 v3, 31, v42
	v_xor_b32_e32 v3, s24, v3
	v_mul_lo_u32 v2, v1, s22
	v_add_u32_e32 v4, 1, v1
	v_sub_u32_e32 v0, v0, v2
	v_cmp_le_u32_e64 s[0:1], s22, v0
	v_subrev_u32_e32 v2, s22, v0
	v_cndmask_b32_e64 v1, v1, v4, s[0:1]
	v_cndmask_b32_e64 v0, v0, v2, s[0:1]
	v_add_u32_e32 v2, 1, v1
	v_cmp_le_u32_e64 s[0:1], s22, v0
	v_cndmask_b32_e64 v0, v1, v2, s[0:1]
	v_xor_b32_e32 v0, v0, v3
	v_sub_u32_e32 v0, v0, v3
	v_mul_lo_u32 v1, v0, s10
	v_sub_u32_e32 v2, v42, v1
	v_mad_u64_u32 v[0:1], s[0:1], v0, s8, v[2:3]
	v_cmp_gt_i32_e64 s[0:1], s8, v2
	v_mov_b32_e32 v3, 0
	v_cmp_gt_i32_e64 s[4:5], s9, v0
	v_cmp_lt_i32_e64 s[2:3], -1, v0
	s_and_b64 s[0:1], s[0:1], s[4:5]
	v_mov_b32_e32 v1, 0
	v_mov_b32_e32 v4, 0
	;; [unrolled: 1-line block ×3, first 2 shown]
	s_and_b64 s[0:1], s[0:1], s[2:3]
	buffer_store_dword v3, off, s[28:31], 0 offset:72 ; 4-byte Folded Spill
	s_nop 0
	buffer_store_dword v4, off, s[28:31], 0 offset:76 ; 4-byte Folded Spill
	buffer_store_dword v1, off, s[28:31], 0 offset:80 ; 4-byte Folded Spill
	s_nop 0
	buffer_store_dword v2, off, s[28:31], 0 offset:84 ; 4-byte Folded Spill
	s_and_saveexec_b64 s[2:3], s[0:1]
	s_cbranch_execz .LBB0_29
; %bb.28:                               ;   in Loop: Header=BB0_3 Depth=1
	v_mov_b32_e32 v1, v24
	v_lshlrev_b64 v[0:1], 3, v[0:1]
	v_mov_b32_e32 v2, s15
	v_add_co_u32_e64 v0, s[0:1], s14, v0
	v_addc_co_u32_e64 v1, s[0:1], v2, v1, s[0:1]
	global_load_dwordx2 v[0:1], v[0:1], off
	s_waitcnt vmcnt(0)
	buffer_store_dword v0, off, s[28:31], 0 offset:80 ; 4-byte Folded Spill
	s_nop 0
	buffer_store_dword v1, off, s[28:31], 0 offset:84 ; 4-byte Folded Spill
.LBB0_29:                               ;   in Loop: Header=BB0_3 Depth=1
	s_or_b64 exec, exec, s[2:3]
	v_subrev_u32_e32 v46, s20, v42
	v_sub_u32_e32 v0, 0, v46
	v_max_i32_e32 v0, v46, v0
	v_mul_hi_u32 v1, v0, v34
	v_ashrrev_i32_e32 v3, 31, v46
	v_xor_b32_e32 v3, s24, v3
	v_mul_lo_u32 v2, v1, s22
	v_add_u32_e32 v4, 1, v1
	v_sub_u32_e32 v0, v0, v2
	v_cmp_le_u32_e64 s[0:1], s22, v0
	v_subrev_u32_e32 v2, s22, v0
	v_cndmask_b32_e64 v1, v1, v4, s[0:1]
	v_cndmask_b32_e64 v0, v0, v2, s[0:1]
	v_add_u32_e32 v2, 1, v1
	v_cmp_le_u32_e64 s[0:1], s22, v0
	v_cndmask_b32_e64 v0, v1, v2, s[0:1]
	v_xor_b32_e32 v0, v0, v3
	v_sub_u32_e32 v0, v0, v3
	v_mul_lo_u32 v1, v0, s10
	v_sub_u32_e32 v2, v46, v1
	v_mad_u64_u32 v[0:1], s[0:1], v0, s8, v[2:3]
	v_cmp_gt_i32_e64 s[0:1], s8, v2
	v_cmp_gt_i32_e64 s[4:5], s9, v0
	v_cmp_lt_i32_e64 s[2:3], -1, v0
	s_and_b64 s[0:1], s[0:1], s[4:5]
	s_and_b64 s[0:1], s[0:1], s[2:3]
	s_and_saveexec_b64 s[2:3], s[0:1]
	s_cbranch_execz .LBB0_31
; %bb.30:                               ;   in Loop: Header=BB0_3 Depth=1
	v_mov_b32_e32 v1, v24
	v_lshlrev_b64 v[0:1], 3, v[0:1]
	v_mov_b32_e32 v2, s15
	v_add_co_u32_e64 v0, s[0:1], s14, v0
	v_addc_co_u32_e64 v1, s[0:1], v2, v1, s[0:1]
	global_load_dwordx2 v[0:1], v[0:1], off
	s_waitcnt vmcnt(0)
	buffer_store_dword v0, off, s[28:31], 0 offset:72 ; 4-byte Folded Spill
	s_nop 0
	buffer_store_dword v1, off, s[28:31], 0 offset:76 ; 4-byte Folded Spill
.LBB0_31:                               ;   in Loop: Header=BB0_3 Depth=1
	s_or_b64 exec, exec, s[2:3]
	v_subrev_u32_e32 v49, s20, v46
	v_sub_u32_e32 v0, 0, v49
	v_max_i32_e32 v0, v49, v0
	v_mul_hi_u32 v1, v0, v34
	v_ashrrev_i32_e32 v3, 31, v49
	v_xor_b32_e32 v3, s24, v3
	v_mul_lo_u32 v2, v1, s22
	v_add_u32_e32 v4, 1, v1
	v_sub_u32_e32 v0, v0, v2
	v_cmp_le_u32_e64 s[0:1], s22, v0
	v_subrev_u32_e32 v2, s22, v0
	v_cndmask_b32_e64 v1, v1, v4, s[0:1]
	v_cndmask_b32_e64 v0, v0, v2, s[0:1]
	v_add_u32_e32 v2, 1, v1
	v_cmp_le_u32_e64 s[0:1], s22, v0
	v_cndmask_b32_e64 v0, v1, v2, s[0:1]
	v_xor_b32_e32 v0, v0, v3
	v_sub_u32_e32 v0, v0, v3
	v_mul_lo_u32 v1, v0, s10
	v_sub_u32_e32 v2, v49, v1
	v_mad_u64_u32 v[0:1], s[0:1], v0, s8, v[2:3]
	v_cmp_gt_i32_e64 s[0:1], s8, v2
	v_mov_b32_e32 v3, 0
	v_cmp_gt_i32_e64 s[4:5], s9, v0
	v_cmp_lt_i32_e64 s[2:3], -1, v0
	s_and_b64 s[0:1], s[0:1], s[4:5]
	v_mov_b32_e32 v1, 0
	v_mov_b32_e32 v4, 0
	;; [unrolled: 1-line block ×3, first 2 shown]
	s_and_b64 s[0:1], s[0:1], s[2:3]
	buffer_store_dword v3, off, s[28:31], 0 offset:88 ; 4-byte Folded Spill
	s_nop 0
	buffer_store_dword v4, off, s[28:31], 0 offset:92 ; 4-byte Folded Spill
	buffer_store_dword v1, off, s[28:31], 0 offset:96 ; 4-byte Folded Spill
	s_nop 0
	buffer_store_dword v2, off, s[28:31], 0 offset:100 ; 4-byte Folded Spill
	s_and_saveexec_b64 s[2:3], s[0:1]
	s_cbranch_execz .LBB0_33
; %bb.32:                               ;   in Loop: Header=BB0_3 Depth=1
	v_mov_b32_e32 v1, v24
	v_lshlrev_b64 v[0:1], 3, v[0:1]
	v_mov_b32_e32 v2, s15
	v_add_co_u32_e64 v0, s[0:1], s14, v0
	v_addc_co_u32_e64 v1, s[0:1], v2, v1, s[0:1]
	global_load_dwordx2 v[0:1], v[0:1], off
	s_waitcnt vmcnt(0)
	buffer_store_dword v0, off, s[28:31], 0 offset:96 ; 4-byte Folded Spill
	s_nop 0
	buffer_store_dword v1, off, s[28:31], 0 offset:100 ; 4-byte Folded Spill
.LBB0_33:                               ;   in Loop: Header=BB0_3 Depth=1
	s_or_b64 exec, exec, s[2:3]
	v_subrev_u32_e32 v53, s20, v49
	v_sub_u32_e32 v0, 0, v53
	v_max_i32_e32 v0, v53, v0
	v_mul_hi_u32 v1, v0, v34
	v_ashrrev_i32_e32 v3, 31, v53
	v_xor_b32_e32 v3, s24, v3
	v_mul_lo_u32 v2, v1, s22
	v_add_u32_e32 v4, 1, v1
	v_sub_u32_e32 v0, v0, v2
	v_cmp_le_u32_e64 s[0:1], s22, v0
	v_subrev_u32_e32 v2, s22, v0
	v_cndmask_b32_e64 v1, v1, v4, s[0:1]
	v_cndmask_b32_e64 v0, v0, v2, s[0:1]
	v_add_u32_e32 v2, 1, v1
	v_cmp_le_u32_e64 s[0:1], s22, v0
	v_cndmask_b32_e64 v0, v1, v2, s[0:1]
	v_xor_b32_e32 v0, v0, v3
	v_sub_u32_e32 v0, v0, v3
	v_mul_lo_u32 v1, v0, s10
	v_sub_u32_e32 v2, v53, v1
	v_mad_u64_u32 v[0:1], s[0:1], v0, s8, v[2:3]
	v_cmp_gt_i32_e64 s[0:1], s8, v2
	v_cmp_gt_i32_e64 s[4:5], s9, v0
	v_cmp_lt_i32_e64 s[2:3], -1, v0
	s_and_b64 s[0:1], s[0:1], s[4:5]
	s_and_b64 s[0:1], s[0:1], s[2:3]
	s_and_saveexec_b64 s[2:3], s[0:1]
	s_cbranch_execz .LBB0_35
; %bb.34:                               ;   in Loop: Header=BB0_3 Depth=1
	v_mov_b32_e32 v1, v24
	v_lshlrev_b64 v[0:1], 3, v[0:1]
	v_mov_b32_e32 v2, s15
	v_add_co_u32_e64 v0, s[0:1], s14, v0
	v_addc_co_u32_e64 v1, s[0:1], v2, v1, s[0:1]
	global_load_dwordx2 v[0:1], v[0:1], off
	s_waitcnt vmcnt(0)
	buffer_store_dword v0, off, s[28:31], 0 offset:88 ; 4-byte Folded Spill
	s_nop 0
	buffer_store_dword v1, off, s[28:31], 0 offset:92 ; 4-byte Folded Spill
.LBB0_35:                               ;   in Loop: Header=BB0_3 Depth=1
	s_or_b64 exec, exec, s[2:3]
	v_subrev_u32_e32 v56, s20, v53
	v_sub_u32_e32 v0, 0, v56
	v_max_i32_e32 v0, v56, v0
	v_mul_hi_u32 v1, v0, v34
	v_ashrrev_i32_e32 v3, 31, v56
	v_xor_b32_e32 v3, s24, v3
	v_mul_lo_u32 v2, v1, s22
	v_add_u32_e32 v4, 1, v1
	v_sub_u32_e32 v0, v0, v2
	v_cmp_le_u32_e64 s[0:1], s22, v0
	v_subrev_u32_e32 v2, s22, v0
	v_cndmask_b32_e64 v1, v1, v4, s[0:1]
	v_cndmask_b32_e64 v0, v0, v2, s[0:1]
	v_add_u32_e32 v2, 1, v1
	v_cmp_le_u32_e64 s[0:1], s22, v0
	v_cndmask_b32_e64 v0, v1, v2, s[0:1]
	v_xor_b32_e32 v0, v0, v3
	v_sub_u32_e32 v0, v0, v3
	v_mul_lo_u32 v1, v0, s10
	v_sub_u32_e32 v2, v56, v1
	v_mad_u64_u32 v[0:1], s[0:1], v0, s8, v[2:3]
	v_cmp_gt_i32_e64 s[0:1], s8, v2
	v_mov_b32_e32 v3, 0
	v_cmp_gt_i32_e64 s[4:5], s9, v0
	v_cmp_lt_i32_e64 s[2:3], -1, v0
	s_and_b64 s[0:1], s[0:1], s[4:5]
	v_mov_b32_e32 v1, 0
	v_mov_b32_e32 v4, 0
	;; [unrolled: 1-line block ×3, first 2 shown]
	s_and_b64 s[0:1], s[0:1], s[2:3]
	buffer_store_dword v3, off, s[28:31], 0 offset:104 ; 4-byte Folded Spill
	s_nop 0
	buffer_store_dword v4, off, s[28:31], 0 offset:108 ; 4-byte Folded Spill
	buffer_store_dword v1, off, s[28:31], 0 offset:112 ; 4-byte Folded Spill
	s_nop 0
	buffer_store_dword v2, off, s[28:31], 0 offset:116 ; 4-byte Folded Spill
	s_and_saveexec_b64 s[2:3], s[0:1]
	s_cbranch_execz .LBB0_37
; %bb.36:                               ;   in Loop: Header=BB0_3 Depth=1
	v_mov_b32_e32 v1, v24
	v_lshlrev_b64 v[0:1], 3, v[0:1]
	v_mov_b32_e32 v2, s15
	v_add_co_u32_e64 v0, s[0:1], s14, v0
	v_addc_co_u32_e64 v1, s[0:1], v2, v1, s[0:1]
	global_load_dwordx2 v[0:1], v[0:1], off
	s_waitcnt vmcnt(0)
	buffer_store_dword v0, off, s[28:31], 0 offset:112 ; 4-byte Folded Spill
	s_nop 0
	buffer_store_dword v1, off, s[28:31], 0 offset:116 ; 4-byte Folded Spill
.LBB0_37:                               ;   in Loop: Header=BB0_3 Depth=1
	s_or_b64 exec, exec, s[2:3]
	v_subrev_u32_e32 v60, s20, v56
	v_sub_u32_e32 v0, 0, v60
	v_max_i32_e32 v0, v60, v0
	v_mul_hi_u32 v1, v0, v34
	v_ashrrev_i32_e32 v3, 31, v60
	v_xor_b32_e32 v3, s24, v3
	v_mul_lo_u32 v2, v1, s22
	v_add_u32_e32 v4, 1, v1
	v_sub_u32_e32 v0, v0, v2
	v_cmp_le_u32_e64 s[0:1], s22, v0
	v_subrev_u32_e32 v2, s22, v0
	v_cndmask_b32_e64 v1, v1, v4, s[0:1]
	v_cndmask_b32_e64 v0, v0, v2, s[0:1]
	v_add_u32_e32 v2, 1, v1
	v_cmp_le_u32_e64 s[0:1], s22, v0
	v_cndmask_b32_e64 v0, v1, v2, s[0:1]
	v_xor_b32_e32 v0, v0, v3
	v_sub_u32_e32 v0, v0, v3
	v_mul_lo_u32 v1, v0, s10
	v_sub_u32_e32 v2, v60, v1
	v_mad_u64_u32 v[0:1], s[0:1], v0, s8, v[2:3]
	v_cmp_gt_i32_e64 s[0:1], s8, v2
	v_cmp_gt_i32_e64 s[4:5], s9, v0
	v_cmp_lt_i32_e64 s[2:3], -1, v0
	s_and_b64 s[0:1], s[0:1], s[4:5]
	s_and_b64 s[0:1], s[0:1], s[2:3]
	s_and_saveexec_b64 s[2:3], s[0:1]
	s_cbranch_execz .LBB0_39
; %bb.38:                               ;   in Loop: Header=BB0_3 Depth=1
	v_mov_b32_e32 v1, v24
	v_lshlrev_b64 v[0:1], 3, v[0:1]
	v_mov_b32_e32 v2, s15
	v_add_co_u32_e64 v0, s[0:1], s14, v0
	v_addc_co_u32_e64 v1, s[0:1], v2, v1, s[0:1]
	global_load_dwordx2 v[0:1], v[0:1], off
	s_waitcnt vmcnt(0)
	buffer_store_dword v0, off, s[28:31], 0 offset:104 ; 4-byte Folded Spill
	s_nop 0
	buffer_store_dword v1, off, s[28:31], 0 offset:108 ; 4-byte Folded Spill
.LBB0_39:                               ;   in Loop: Header=BB0_3 Depth=1
	s_or_b64 exec, exec, s[2:3]
	v_subrev_u32_e32 v2, s20, v60
	v_sub_u32_e32 v0, 0, v2
	v_max_i32_e32 v0, v2, v0
	v_mul_hi_u32 v1, v0, v34
	v_ashrrev_i32_e32 v4, 31, v2
	v_xor_b32_e32 v4, s24, v4
	v_mul_lo_u32 v3, v1, s22
	v_add_u32_e32 v5, 1, v1
	v_sub_u32_e32 v0, v0, v3
	v_cmp_le_u32_e64 s[0:1], s22, v0
	v_subrev_u32_e32 v3, s22, v0
	v_cndmask_b32_e64 v1, v1, v5, s[0:1]
	v_cndmask_b32_e64 v0, v0, v3, s[0:1]
	v_add_u32_e32 v3, 1, v1
	v_cmp_le_u32_e64 s[0:1], s22, v0
	v_cndmask_b32_e64 v0, v1, v3, s[0:1]
	v_xor_b32_e32 v0, v0, v4
	v_sub_u32_e32 v0, v0, v4
	v_mul_lo_u32 v1, v0, s10
	v_sub_u32_e32 v3, v2, v1
	v_mad_u64_u32 v[0:1], s[0:1], v0, s8, v[3:4]
	v_mov_b32_e32 v4, 0
	v_mov_b32_e32 v5, 0
	buffer_store_dword v4, off, s[28:31], 0 offset:120 ; 4-byte Folded Spill
	s_nop 0
	buffer_store_dword v5, off, s[28:31], 0 offset:124 ; 4-byte Folded Spill
	v_cmp_gt_i32_e64 s[0:1], s8, v3
	v_cmp_gt_i32_e64 s[4:5], s9, v0
	v_cmp_lt_i32_e64 s[2:3], -1, v0
	s_and_b64 s[0:1], s[0:1], s[4:5]
	v_mov_b32_e32 v3, 0
	v_mov_b32_e32 v4, 0
	s_and_b64 s[0:1], s[0:1], s[2:3]
	buffer_store_dword v3, off, s[28:31], 0 offset:128 ; 4-byte Folded Spill
	s_nop 0
	buffer_store_dword v4, off, s[28:31], 0 offset:132 ; 4-byte Folded Spill
	s_and_saveexec_b64 s[2:3], s[0:1]
	s_cbranch_execz .LBB0_41
; %bb.40:                               ;   in Loop: Header=BB0_3 Depth=1
	v_mov_b32_e32 v1, v24
	v_lshlrev_b64 v[0:1], 3, v[0:1]
	v_mov_b32_e32 v3, s15
	v_add_co_u32_e64 v0, s[0:1], s14, v0
	v_addc_co_u32_e64 v1, s[0:1], v3, v1, s[0:1]
	global_load_dwordx2 v[0:1], v[0:1], off
	s_waitcnt vmcnt(0)
	buffer_store_dword v0, off, s[28:31], 0 offset:128 ; 4-byte Folded Spill
	s_nop 0
	buffer_store_dword v1, off, s[28:31], 0 offset:132 ; 4-byte Folded Spill
.LBB0_41:                               ;   in Loop: Header=BB0_3 Depth=1
	s_or_b64 exec, exec, s[2:3]
	v_subrev_u32_e32 v16, s20, v2
	v_sub_u32_e32 v1, 0, v16
	v_max_i32_e32 v1, v16, v1
	v_mul_hi_u32 v3, v1, v34
	v_ashrrev_i32_e32 v0, 31, v16
	v_xor_b32_e32 v0, s24, v0
	v_mul_lo_u32 v4, v3, s22
	v_sub_u32_e32 v1, v1, v4
	v_cmp_le_u32_e64 s[0:1], s22, v1
	v_add_u32_e32 v4, 1, v3
	v_cndmask_b32_e64 v3, v3, v4, s[0:1]
	v_subrev_u32_e32 v4, s22, v1
	v_cndmask_b32_e64 v1, v1, v4, s[0:1]
	v_cmp_le_u32_e64 s[0:1], s22, v1
	v_add_u32_e32 v1, 1, v3
	v_cndmask_b32_e64 v1, v3, v1, s[0:1]
	v_xor_b32_e32 v1, v1, v0
	v_sub_u32_e32 v0, v1, v0
	v_mul_lo_u32 v1, v0, s10
	v_sub_u32_e32 v3, v16, v1
	v_mad_u64_u32 v[0:1], s[0:1], v0, s8, v[3:4]
	v_cmp_gt_i32_e64 s[2:3], s8, v3
	v_cmp_gt_i32_e64 s[4:5], s9, v0
	v_cmp_lt_i32_e64 s[0:1], -1, v0
	s_and_b64 s[2:3], s[2:3], s[4:5]
	s_and_b64 s[0:1], s[2:3], s[0:1]
	s_and_saveexec_b64 s[2:3], s[0:1]
	s_cbranch_execz .LBB0_43
; %bb.42:                               ;   in Loop: Header=BB0_3 Depth=1
	v_mov_b32_e32 v1, v24
	v_lshlrev_b64 v[0:1], 3, v[0:1]
	v_mov_b32_e32 v3, s15
	v_add_co_u32_e64 v0, s[0:1], s14, v0
	v_addc_co_u32_e64 v1, s[0:1], v3, v1, s[0:1]
	global_load_dwordx2 v[0:1], v[0:1], off
	s_waitcnt vmcnt(0)
	buffer_store_dword v0, off, s[28:31], 0 offset:120 ; 4-byte Folded Spill
	s_nop 0
	buffer_store_dword v1, off, s[28:31], 0 offset:124 ; 4-byte Folded Spill
.LBB0_43:                               ;   in Loop: Header=BB0_3 Depth=1
	s_or_b64 exec, exec, s[2:3]
	v_subrev_u32_e32 v30, s20, v16
	v_sub_u32_e32 v1, 0, v30
	v_max_i32_e32 v1, v30, v1
	v_mul_hi_u32 v3, v1, v34
	v_ashrrev_i32_e32 v0, 31, v30
	v_xor_b32_e32 v0, s24, v0
	v_mul_lo_u32 v4, v3, s22
	v_sub_u32_e32 v1, v1, v4
	v_cmp_le_u32_e64 s[0:1], s22, v1
	v_add_u32_e32 v4, 1, v3
	v_cndmask_b32_e64 v3, v3, v4, s[0:1]
	v_subrev_u32_e32 v4, s22, v1
	v_cndmask_b32_e64 v1, v1, v4, s[0:1]
	v_cmp_le_u32_e64 s[0:1], s22, v1
	v_add_u32_e32 v1, 1, v3
	v_cndmask_b32_e64 v1, v3, v1, s[0:1]
	v_xor_b32_e32 v1, v1, v0
	v_sub_u32_e32 v1, v1, v0
	v_mul_lo_u32 v0, v1, s10
	v_sub_u32_e32 v0, v30, v0
	v_mad_u64_u32 v[3:4], s[0:1], v1, s8, v[0:1]
	v_cmp_gt_i32_e64 s[2:3], s8, v0
	v_mov_b32_e32 v0, 0
	v_mov_b32_e32 v1, 0
	v_cmp_gt_i32_e64 s[4:5], s9, v3
	buffer_store_dword v0, off, s[28:31], 0 offset:136 ; 4-byte Folded Spill
	s_nop 0
	buffer_store_dword v1, off, s[28:31], 0 offset:140 ; 4-byte Folded Spill
	v_cmp_lt_i32_e64 s[0:1], -1, v3
	s_and_b64 s[2:3], s[2:3], s[4:5]
	v_mov_b32_e32 v0, 0
	s_and_b64 s[0:1], s[2:3], s[0:1]
	v_mov_b32_e32 v1, 0
	buffer_store_dword v0, off, s[28:31], 0 offset:144 ; 4-byte Folded Spill
	s_nop 0
	buffer_store_dword v1, off, s[28:31], 0 offset:148 ; 4-byte Folded Spill
	s_and_saveexec_b64 s[2:3], s[0:1]
	s_cbranch_execz .LBB0_45
; %bb.44:                               ;   in Loop: Header=BB0_3 Depth=1
	v_mov_b32_e32 v4, v24
	v_lshlrev_b64 v[0:1], 3, v[3:4]
	v_mov_b32_e32 v3, s15
	v_add_co_u32_e64 v0, s[0:1], s14, v0
	v_addc_co_u32_e64 v1, s[0:1], v3, v1, s[0:1]
	global_load_dwordx2 v[0:1], v[0:1], off
	s_waitcnt vmcnt(0)
	buffer_store_dword v0, off, s[28:31], 0 offset:144 ; 4-byte Folded Spill
	s_nop 0
	buffer_store_dword v1, off, s[28:31], 0 offset:148 ; 4-byte Folded Spill
.LBB0_45:                               ;   in Loop: Header=BB0_3 Depth=1
	s_or_b64 exec, exec, s[2:3]
	v_subrev_u32_e32 v44, s20, v30
	v_sub_u32_e32 v1, 0, v44
	v_max_i32_e32 v1, v44, v1
	v_mul_hi_u32 v3, v1, v34
	v_ashrrev_i32_e32 v0, 31, v44
	v_xor_b32_e32 v0, s24, v0
	v_mul_lo_u32 v4, v3, s22
	v_sub_u32_e32 v1, v1, v4
	v_cmp_le_u32_e64 s[0:1], s22, v1
	v_add_u32_e32 v4, 1, v3
	v_cndmask_b32_e64 v3, v3, v4, s[0:1]
	v_subrev_u32_e32 v4, s22, v1
	v_cndmask_b32_e64 v1, v1, v4, s[0:1]
	v_cmp_le_u32_e64 s[0:1], s22, v1
	v_add_u32_e32 v1, 1, v3
	v_cndmask_b32_e64 v1, v3, v1, s[0:1]
	v_xor_b32_e32 v1, v1, v0
	v_sub_u32_e32 v0, v1, v0
	v_mul_lo_u32 v1, v0, s10
	v_sub_u32_e32 v3, v44, v1
	v_mad_u64_u32 v[0:1], s[0:1], v0, s8, v[3:4]
	v_cmp_gt_i32_e64 s[2:3], s8, v3
	v_cmp_gt_i32_e64 s[4:5], s9, v0
	v_cmp_lt_i32_e64 s[0:1], -1, v0
	s_and_b64 s[2:3], s[2:3], s[4:5]
	s_and_b64 s[0:1], s[2:3], s[0:1]
	s_and_saveexec_b64 s[2:3], s[0:1]
	s_cbranch_execz .LBB0_47
; %bb.46:                               ;   in Loop: Header=BB0_3 Depth=1
	v_mov_b32_e32 v1, v24
	v_lshlrev_b64 v[0:1], 3, v[0:1]
	v_mov_b32_e32 v3, s15
	v_add_co_u32_e64 v0, s[0:1], s14, v0
	v_addc_co_u32_e64 v1, s[0:1], v3, v1, s[0:1]
	global_load_dwordx2 v[0:1], v[0:1], off
	s_waitcnt vmcnt(0)
	buffer_store_dword v0, off, s[28:31], 0 offset:136 ; 4-byte Folded Spill
	s_nop 0
	buffer_store_dword v1, off, s[28:31], 0 offset:140 ; 4-byte Folded Spill
.LBB0_47:                               ;   in Loop: Header=BB0_3 Depth=1
	s_or_b64 exec, exec, s[2:3]
	v_subrev_u32_e32 v58, s20, v44
	v_sub_u32_e32 v1, 0, v58
	v_max_i32_e32 v1, v58, v1
	v_mul_hi_u32 v3, v1, v34
	v_ashrrev_i32_e32 v0, 31, v58
	v_xor_b32_e32 v0, s24, v0
	v_mul_lo_u32 v4, v3, s22
	v_sub_u32_e32 v1, v1, v4
	v_cmp_le_u32_e64 s[0:1], s22, v1
	v_add_u32_e32 v4, 1, v3
	v_cndmask_b32_e64 v3, v3, v4, s[0:1]
	v_subrev_u32_e32 v4, s22, v1
	v_cndmask_b32_e64 v1, v1, v4, s[0:1]
	v_cmp_le_u32_e64 s[0:1], s22, v1
	v_add_u32_e32 v1, 1, v3
	v_cndmask_b32_e64 v1, v3, v1, s[0:1]
	v_xor_b32_e32 v1, v1, v0
	v_sub_u32_e32 v1, v1, v0
	v_mul_lo_u32 v0, v1, s10
	v_sub_u32_e32 v0, v58, v0
	v_mad_u64_u32 v[3:4], s[0:1], v1, s8, v[0:1]
	v_cmp_gt_i32_e64 s[2:3], s8, v0
	v_mov_b32_e32 v0, 0
	v_mov_b32_e32 v1, 0
	v_cmp_gt_i32_e64 s[4:5], s9, v3
	buffer_store_dword v0, off, s[28:31], 0 offset:152 ; 4-byte Folded Spill
	s_nop 0
	buffer_store_dword v1, off, s[28:31], 0 offset:156 ; 4-byte Folded Spill
	v_cmp_lt_i32_e64 s[0:1], -1, v3
	s_and_b64 s[2:3], s[2:3], s[4:5]
	v_mov_b32_e32 v0, 0
	s_and_b64 s[0:1], s[2:3], s[0:1]
	v_mov_b32_e32 v1, 0
	buffer_store_dword v0, off, s[28:31], 0 offset:160 ; 4-byte Folded Spill
	s_nop 0
	buffer_store_dword v1, off, s[28:31], 0 offset:164 ; 4-byte Folded Spill
	s_and_saveexec_b64 s[2:3], s[0:1]
	s_cbranch_execz .LBB0_49
; %bb.48:                               ;   in Loop: Header=BB0_3 Depth=1
	v_mov_b32_e32 v4, v24
	v_lshlrev_b64 v[0:1], 3, v[3:4]
	v_mov_b32_e32 v3, s15
	v_add_co_u32_e64 v0, s[0:1], s14, v0
	v_addc_co_u32_e64 v1, s[0:1], v3, v1, s[0:1]
	global_load_dwordx2 v[0:1], v[0:1], off
	s_waitcnt vmcnt(0)
	buffer_store_dword v0, off, s[28:31], 0 offset:160 ; 4-byte Folded Spill
	s_nop 0
	buffer_store_dword v1, off, s[28:31], 0 offset:164 ; 4-byte Folded Spill
.LBB0_49:                               ;   in Loop: Header=BB0_3 Depth=1
	s_or_b64 exec, exec, s[2:3]
	v_subrev_u32_e32 v9, s20, v58
	v_sub_u32_e32 v1, 0, v9
	v_max_i32_e32 v1, v9, v1
	v_mul_hi_u32 v3, v1, v34
	v_ashrrev_i32_e32 v0, 31, v9
	v_xor_b32_e32 v0, s24, v0
	v_mul_lo_u32 v4, v3, s22
	v_sub_u32_e32 v1, v1, v4
	v_cmp_le_u32_e64 s[0:1], s22, v1
	v_add_u32_e32 v4, 1, v3
	v_cndmask_b32_e64 v3, v3, v4, s[0:1]
	v_subrev_u32_e32 v4, s22, v1
	v_cndmask_b32_e64 v1, v1, v4, s[0:1]
	v_cmp_le_u32_e64 s[0:1], s22, v1
	v_add_u32_e32 v1, 1, v3
	v_cndmask_b32_e64 v1, v3, v1, s[0:1]
	v_xor_b32_e32 v1, v1, v0
	v_sub_u32_e32 v0, v1, v0
	v_mul_lo_u32 v1, v0, s10
	v_sub_u32_e32 v3, v9, v1
	v_mad_u64_u32 v[0:1], s[0:1], v0, s8, v[3:4]
	v_cmp_gt_i32_e64 s[2:3], s8, v3
	v_cmp_gt_i32_e64 s[4:5], s9, v0
	v_cmp_lt_i32_e64 s[0:1], -1, v0
	s_and_b64 s[2:3], s[2:3], s[4:5]
	s_and_b64 s[0:1], s[2:3], s[0:1]
	s_and_saveexec_b64 s[2:3], s[0:1]
	s_cbranch_execz .LBB0_51
; %bb.50:                               ;   in Loop: Header=BB0_3 Depth=1
	v_mov_b32_e32 v1, v24
	v_lshlrev_b64 v[0:1], 3, v[0:1]
	v_mov_b32_e32 v3, s15
	v_add_co_u32_e64 v0, s[0:1], s14, v0
	v_addc_co_u32_e64 v1, s[0:1], v3, v1, s[0:1]
	global_load_dwordx2 v[0:1], v[0:1], off
	s_waitcnt vmcnt(0)
	buffer_store_dword v0, off, s[28:31], 0 offset:152 ; 4-byte Folded Spill
	s_nop 0
	buffer_store_dword v1, off, s[28:31], 0 offset:156 ; 4-byte Folded Spill
.LBB0_51:                               ;   in Loop: Header=BB0_3 Depth=1
	s_or_b64 exec, exec, s[2:3]
	v_subrev_u32_e32 v37, s20, v9
	v_sub_u32_e32 v1, 0, v37
	v_max_i32_e32 v1, v37, v1
	v_mul_hi_u32 v3, v1, v34
	v_ashrrev_i32_e32 v0, 31, v37
	v_xor_b32_e32 v0, s24, v0
	v_mul_lo_u32 v4, v3, s22
	v_sub_u32_e32 v1, v1, v4
	v_cmp_le_u32_e64 s[0:1], s22, v1
	v_add_u32_e32 v4, 1, v3
	v_cndmask_b32_e64 v3, v3, v4, s[0:1]
	v_subrev_u32_e32 v4, s22, v1
	v_cndmask_b32_e64 v1, v1, v4, s[0:1]
	v_cmp_le_u32_e64 s[0:1], s22, v1
	v_add_u32_e32 v1, 1, v3
	v_cndmask_b32_e64 v1, v3, v1, s[0:1]
	v_xor_b32_e32 v1, v1, v0
	v_sub_u32_e32 v1, v1, v0
	v_mul_lo_u32 v0, v1, s10
	v_sub_u32_e32 v0, v37, v0
	v_mad_u64_u32 v[3:4], s[0:1], v1, s8, v[0:1]
	v_cmp_gt_i32_e64 s[2:3], s8, v0
	v_mov_b32_e32 v0, 0
	v_mov_b32_e32 v1, 0
	v_cmp_gt_i32_e64 s[4:5], s9, v3
	buffer_store_dword v0, off, s[28:31], 0 offset:168 ; 4-byte Folded Spill
	s_nop 0
	buffer_store_dword v1, off, s[28:31], 0 offset:172 ; 4-byte Folded Spill
	v_cmp_lt_i32_e64 s[0:1], -1, v3
	s_and_b64 s[2:3], s[2:3], s[4:5]
	v_mov_b32_e32 v0, 0
	s_and_b64 s[0:1], s[2:3], s[0:1]
	v_mov_b32_e32 v1, 0
	buffer_store_dword v0, off, s[28:31], 0 offset:176 ; 4-byte Folded Spill
	s_nop 0
	buffer_store_dword v1, off, s[28:31], 0 offset:180 ; 4-byte Folded Spill
	s_and_saveexec_b64 s[2:3], s[0:1]
	s_cbranch_execz .LBB0_53
; %bb.52:                               ;   in Loop: Header=BB0_3 Depth=1
	v_mov_b32_e32 v4, v24
	v_lshlrev_b64 v[0:1], 3, v[3:4]
	v_mov_b32_e32 v3, s15
	v_add_co_u32_e64 v0, s[0:1], s14, v0
	v_addc_co_u32_e64 v1, s[0:1], v3, v1, s[0:1]
	global_load_dwordx2 v[0:1], v[0:1], off
	s_waitcnt vmcnt(0)
	buffer_store_dword v0, off, s[28:31], 0 offset:176 ; 4-byte Folded Spill
	s_nop 0
	buffer_store_dword v1, off, s[28:31], 0 offset:180 ; 4-byte Folded Spill
.LBB0_53:                               ;   in Loop: Header=BB0_3 Depth=1
	s_or_b64 exec, exec, s[2:3]
	v_subrev_u32_e32 v62, s20, v37
	v_sub_u32_e32 v1, 0, v62
	v_max_i32_e32 v1, v62, v1
	v_mul_hi_u32 v3, v1, v34
	v_ashrrev_i32_e32 v0, 31, v62
	v_xor_b32_e32 v0, s24, v0
	v_mul_lo_u32 v4, v3, s22
	v_sub_u32_e32 v1, v1, v4
	v_cmp_le_u32_e64 s[0:1], s22, v1
	v_add_u32_e32 v4, 1, v3
	v_cndmask_b32_e64 v3, v3, v4, s[0:1]
	v_subrev_u32_e32 v4, s22, v1
	v_cndmask_b32_e64 v1, v1, v4, s[0:1]
	v_cmp_le_u32_e64 s[0:1], s22, v1
	v_add_u32_e32 v1, 1, v3
	v_cndmask_b32_e64 v1, v3, v1, s[0:1]
	v_xor_b32_e32 v1, v1, v0
	v_sub_u32_e32 v0, v1, v0
	v_mul_lo_u32 v1, v0, s10
	v_sub_u32_e32 v3, v62, v1
	v_mad_u64_u32 v[0:1], s[0:1], v0, s8, v[3:4]
	v_cmp_gt_i32_e64 s[2:3], s8, v3
	v_cmp_gt_i32_e64 s[4:5], s9, v0
	v_cmp_lt_i32_e64 s[0:1], -1, v0
	s_and_b64 s[2:3], s[2:3], s[4:5]
	s_and_b64 s[0:1], s[2:3], s[0:1]
	s_and_saveexec_b64 s[2:3], s[0:1]
	s_cbranch_execz .LBB0_55
; %bb.54:                               ;   in Loop: Header=BB0_3 Depth=1
	v_mov_b32_e32 v1, v24
	v_lshlrev_b64 v[0:1], 3, v[0:1]
	v_mov_b32_e32 v3, s15
	v_add_co_u32_e64 v0, s[0:1], s14, v0
	v_addc_co_u32_e64 v1, s[0:1], v3, v1, s[0:1]
	global_load_dwordx2 v[0:1], v[0:1], off
	s_waitcnt vmcnt(0)
	buffer_store_dword v0, off, s[28:31], 0 offset:168 ; 4-byte Folded Spill
	s_nop 0
	buffer_store_dword v1, off, s[28:31], 0 offset:172 ; 4-byte Folded Spill
.LBB0_55:                               ;   in Loop: Header=BB0_3 Depth=1
	s_or_b64 exec, exec, s[2:3]
	v_subrev_u32_e32 v51, s20, v62
	v_sub_u32_e32 v1, 0, v51
	v_max_i32_e32 v1, v51, v1
	v_mul_hi_u32 v3, v1, v34
	v_ashrrev_i32_e32 v0, 31, v51
	v_xor_b32_e32 v0, s24, v0
	v_mul_lo_u32 v4, v3, s22
	v_sub_u32_e32 v1, v1, v4
	v_cmp_le_u32_e64 s[0:1], s22, v1
	v_add_u32_e32 v4, 1, v3
	v_cndmask_b32_e64 v3, v3, v4, s[0:1]
	v_subrev_u32_e32 v4, s22, v1
	v_cndmask_b32_e64 v1, v1, v4, s[0:1]
	v_cmp_le_u32_e64 s[0:1], s22, v1
	v_add_u32_e32 v1, 1, v3
	v_cndmask_b32_e64 v1, v3, v1, s[0:1]
	v_xor_b32_e32 v1, v1, v0
	v_sub_u32_e32 v1, v1, v0
	v_mul_lo_u32 v0, v1, s10
	v_sub_u32_e32 v0, v51, v0
	v_mad_u64_u32 v[3:4], s[0:1], v1, s8, v[0:1]
	v_cmp_gt_i32_e64 s[2:3], s8, v0
	v_mov_b32_e32 v0, 0
	v_mov_b32_e32 v1, 0
	v_cmp_gt_i32_e64 s[4:5], s9, v3
	buffer_store_dword v0, off, s[28:31], 0 offset:184 ; 4-byte Folded Spill
	s_nop 0
	buffer_store_dword v1, off, s[28:31], 0 offset:188 ; 4-byte Folded Spill
	v_cmp_lt_i32_e64 s[0:1], -1, v3
	s_and_b64 s[2:3], s[2:3], s[4:5]
	v_mov_b32_e32 v0, 0
	s_and_b64 s[0:1], s[2:3], s[0:1]
	v_mov_b32_e32 v1, 0
	buffer_store_dword v0, off, s[28:31], 0 offset:192 ; 4-byte Folded Spill
	s_nop 0
	buffer_store_dword v1, off, s[28:31], 0 offset:196 ; 4-byte Folded Spill
	s_and_saveexec_b64 s[2:3], s[0:1]
	s_cbranch_execz .LBB0_57
; %bb.56:                               ;   in Loop: Header=BB0_3 Depth=1
	v_mov_b32_e32 v4, v24
	v_lshlrev_b64 v[0:1], 3, v[3:4]
	v_mov_b32_e32 v3, s15
	v_add_co_u32_e64 v0, s[0:1], s14, v0
	v_addc_co_u32_e64 v1, s[0:1], v3, v1, s[0:1]
	global_load_dwordx2 v[0:1], v[0:1], off
	s_waitcnt vmcnt(0)
	buffer_store_dword v0, off, s[28:31], 0 offset:192 ; 4-byte Folded Spill
	s_nop 0
	buffer_store_dword v1, off, s[28:31], 0 offset:196 ; 4-byte Folded Spill
.LBB0_57:                               ;   in Loop: Header=BB0_3 Depth=1
	s_or_b64 exec, exec, s[2:3]
	v_subrev_u32_e32 v7, s20, v51
	v_sub_u32_e32 v1, 0, v7
	v_max_i32_e32 v1, v7, v1
	v_mul_hi_u32 v3, v1, v34
	v_ashrrev_i32_e32 v0, 31, v7
	v_xor_b32_e32 v0, s24, v0
	v_mul_lo_u32 v4, v3, s22
	v_sub_u32_e32 v1, v1, v4
	v_cmp_le_u32_e64 s[0:1], s22, v1
	v_add_u32_e32 v4, 1, v3
	v_cndmask_b32_e64 v3, v3, v4, s[0:1]
	v_subrev_u32_e32 v4, s22, v1
	v_cndmask_b32_e64 v1, v1, v4, s[0:1]
	v_cmp_le_u32_e64 s[0:1], s22, v1
	v_add_u32_e32 v1, 1, v3
	v_cndmask_b32_e64 v1, v3, v1, s[0:1]
	v_xor_b32_e32 v1, v1, v0
	v_sub_u32_e32 v0, v1, v0
	v_mul_lo_u32 v1, v0, s10
	v_sub_u32_e32 v3, v7, v1
	v_mad_u64_u32 v[0:1], s[0:1], v0, s8, v[3:4]
	v_cmp_gt_i32_e64 s[2:3], s8, v3
	v_cmp_gt_i32_e64 s[4:5], s9, v0
	v_cmp_lt_i32_e64 s[0:1], -1, v0
	s_and_b64 s[2:3], s[2:3], s[4:5]
	s_and_b64 s[0:1], s[2:3], s[0:1]
	s_and_saveexec_b64 s[2:3], s[0:1]
	s_cbranch_execz .LBB0_59
; %bb.58:                               ;   in Loop: Header=BB0_3 Depth=1
	v_mov_b32_e32 v1, v24
	v_lshlrev_b64 v[0:1], 3, v[0:1]
	v_mov_b32_e32 v3, s15
	v_add_co_u32_e64 v0, s[0:1], s14, v0
	v_addc_co_u32_e64 v1, s[0:1], v3, v1, s[0:1]
	global_load_dwordx2 v[0:1], v[0:1], off
	s_waitcnt vmcnt(0)
	buffer_store_dword v0, off, s[28:31], 0 offset:184 ; 4-byte Folded Spill
	s_nop 0
	buffer_store_dword v1, off, s[28:31], 0 offset:188 ; 4-byte Folded Spill
.LBB0_59:                               ;   in Loop: Header=BB0_3 Depth=1
	s_or_b64 exec, exec, s[2:3]
	v_subrev_u32_e32 v4, s20, v7
	v_sub_u32_e32 v1, 0, v4
	v_max_i32_e32 v1, v4, v1
	v_mul_hi_u32 v3, v1, v34
	v_ashrrev_i32_e32 v0, 31, v4
	v_xor_b32_e32 v0, s24, v0
	v_mul_lo_u32 v5, v3, s22
	v_sub_u32_e32 v1, v1, v5
	v_cmp_le_u32_e64 s[0:1], s22, v1
	v_add_u32_e32 v5, 1, v3
	v_cndmask_b32_e64 v3, v3, v5, s[0:1]
	v_subrev_u32_e32 v5, s22, v1
	v_cndmask_b32_e64 v1, v1, v5, s[0:1]
	v_cmp_le_u32_e64 s[0:1], s22, v1
	v_add_u32_e32 v1, 1, v3
	v_cndmask_b32_e64 v1, v3, v1, s[0:1]
	v_xor_b32_e32 v1, v1, v0
	v_sub_u32_e32 v1, v1, v0
	v_mul_lo_u32 v0, v1, s10
	v_sub_u32_e32 v0, v4, v0
	v_mad_u64_u32 v[5:6], s[0:1], v1, s8, v[0:1]
	v_cmp_gt_i32_e64 s[2:3], s8, v0
	v_mov_b32_e32 v0, 0
	v_mov_b32_e32 v1, 0
	v_cmp_gt_i32_e64 s[4:5], s9, v5
	buffer_store_dword v0, off, s[28:31], 0 offset:200 ; 4-byte Folded Spill
	s_nop 0
	buffer_store_dword v1, off, s[28:31], 0 offset:204 ; 4-byte Folded Spill
	v_cmp_lt_i32_e64 s[0:1], -1, v5
	s_and_b64 s[2:3], s[2:3], s[4:5]
	v_mov_b32_e32 v0, 0
	s_and_b64 s[0:1], s[2:3], s[0:1]
	v_mov_b32_e32 v1, 0
	buffer_store_dword v0, off, s[28:31], 0 offset:208 ; 4-byte Folded Spill
	s_nop 0
	buffer_store_dword v1, off, s[28:31], 0 offset:212 ; 4-byte Folded Spill
	s_and_saveexec_b64 s[2:3], s[0:1]
	s_cbranch_execz .LBB0_61
; %bb.60:                               ;   in Loop: Header=BB0_3 Depth=1
	v_mov_b32_e32 v6, v24
	v_lshlrev_b64 v[0:1], 3, v[5:6]
	v_mov_b32_e32 v3, s15
	v_add_co_u32_e64 v0, s[0:1], s14, v0
	v_addc_co_u32_e64 v1, s[0:1], v3, v1, s[0:1]
	global_load_dwordx2 v[0:1], v[0:1], off
	s_waitcnt vmcnt(0)
	buffer_store_dword v0, off, s[28:31], 0 offset:208 ; 4-byte Folded Spill
	s_nop 0
	buffer_store_dword v1, off, s[28:31], 0 offset:212 ; 4-byte Folded Spill
.LBB0_61:                               ;   in Loop: Header=BB0_3 Depth=1
	s_or_b64 exec, exec, s[2:3]
	v_subrev_u32_e32 v6, s20, v4
	v_sub_u32_e32 v1, 0, v6
	v_max_i32_e32 v1, v6, v1
	v_mul_hi_u32 v3, v1, v34
	v_ashrrev_i32_e32 v0, 31, v6
	v_xor_b32_e32 v0, s24, v0
	v_mul_lo_u32 v5, v3, s22
	v_sub_u32_e32 v1, v1, v5
	v_cmp_le_u32_e64 s[0:1], s22, v1
	v_add_u32_e32 v5, 1, v3
	v_cndmask_b32_e64 v3, v3, v5, s[0:1]
	v_subrev_u32_e32 v5, s22, v1
	v_cndmask_b32_e64 v1, v1, v5, s[0:1]
	v_cmp_le_u32_e64 s[0:1], s22, v1
	v_add_u32_e32 v1, 1, v3
	v_cndmask_b32_e64 v1, v3, v1, s[0:1]
	v_xor_b32_e32 v1, v1, v0
	v_sub_u32_e32 v0, v1, v0
	v_mul_lo_u32 v1, v0, s10
	v_sub_u32_e32 v3, v6, v1
	v_mad_u64_u32 v[0:1], s[0:1], v0, s8, v[3:4]
	v_cmp_gt_i32_e64 s[2:3], s8, v3
	v_cmp_gt_i32_e64 s[4:5], s9, v0
	v_cmp_lt_i32_e64 s[0:1], -1, v0
	s_and_b64 s[2:3], s[2:3], s[4:5]
	s_and_b64 s[0:1], s[2:3], s[0:1]
	s_and_saveexec_b64 s[2:3], s[0:1]
	s_cbranch_execz .LBB0_63
; %bb.62:                               ;   in Loop: Header=BB0_3 Depth=1
	v_mov_b32_e32 v1, v24
	v_lshlrev_b64 v[0:1], 3, v[0:1]
	v_mov_b32_e32 v3, s15
	v_add_co_u32_e64 v0, s[0:1], s14, v0
	v_addc_co_u32_e64 v1, s[0:1], v3, v1, s[0:1]
	global_load_dwordx2 v[0:1], v[0:1], off
	s_waitcnt vmcnt(0)
	buffer_store_dword v0, off, s[28:31], 0 offset:200 ; 4-byte Folded Spill
	s_nop 0
	buffer_store_dword v1, off, s[28:31], 0 offset:204 ; 4-byte Folded Spill
.LBB0_63:                               ;   in Loop: Header=BB0_3 Depth=1
	s_or_b64 exec, exec, s[2:3]
	v_subrev_u32_e32 v11, s20, v6
	v_sub_u32_e32 v1, 0, v11
	v_max_i32_e32 v1, v11, v1
	v_mul_hi_u32 v3, v1, v34
	v_ashrrev_i32_e32 v0, 31, v11
	v_xor_b32_e32 v0, s24, v0
	v_mul_lo_u32 v5, v3, s22
	v_sub_u32_e32 v1, v1, v5
	v_cmp_le_u32_e64 s[0:1], s22, v1
	v_add_u32_e32 v5, 1, v3
	v_cndmask_b32_e64 v3, v3, v5, s[0:1]
	v_subrev_u32_e32 v5, s22, v1
	v_cndmask_b32_e64 v1, v1, v5, s[0:1]
	v_cmp_le_u32_e64 s[0:1], s22, v1
	v_add_u32_e32 v1, 1, v3
	v_cndmask_b32_e64 v1, v3, v1, s[0:1]
	v_xor_b32_e32 v1, v1, v0
	v_sub_u32_e32 v1, v1, v0
	v_mul_lo_u32 v0, v1, s10
	v_sub_u32_e32 v0, v11, v0
	v_mad_u64_u32 v[12:13], s[0:1], v1, s8, v[0:1]
	v_cmp_gt_i32_e64 s[2:3], s8, v0
	v_mov_b32_e32 v0, 0
	v_mov_b32_e32 v1, 0
	v_cmp_gt_i32_e64 s[4:5], s9, v12
	buffer_store_dword v0, off, s[28:31], 0 offset:216 ; 4-byte Folded Spill
	s_nop 0
	buffer_store_dword v1, off, s[28:31], 0 offset:220 ; 4-byte Folded Spill
	v_cmp_lt_i32_e64 s[0:1], -1, v12
	s_and_b64 s[2:3], s[2:3], s[4:5]
	v_mov_b32_e32 v0, 0
	s_and_b64 s[0:1], s[2:3], s[0:1]
	v_mov_b32_e32 v1, 0
	buffer_store_dword v0, off, s[28:31], 0 offset:224 ; 4-byte Folded Spill
	s_nop 0
	buffer_store_dword v1, off, s[28:31], 0 offset:228 ; 4-byte Folded Spill
	s_and_saveexec_b64 s[2:3], s[0:1]
	s_cbranch_execz .LBB0_65
; %bb.64:                               ;   in Loop: Header=BB0_3 Depth=1
	v_mov_b32_e32 v13, v24
	v_lshlrev_b64 v[0:1], 3, v[12:13]
	v_mov_b32_e32 v3, s15
	v_add_co_u32_e64 v0, s[0:1], s14, v0
	v_addc_co_u32_e64 v1, s[0:1], v3, v1, s[0:1]
	global_load_dwordx2 v[0:1], v[0:1], off
	s_waitcnt vmcnt(0)
	buffer_store_dword v0, off, s[28:31], 0 offset:224 ; 4-byte Folded Spill
	s_nop 0
	buffer_store_dword v1, off, s[28:31], 0 offset:228 ; 4-byte Folded Spill
.LBB0_65:                               ;   in Loop: Header=BB0_3 Depth=1
	s_or_b64 exec, exec, s[2:3]
	v_subrev_u32_e32 v13, s20, v11
	v_sub_u32_e32 v1, 0, v13
	v_max_i32_e32 v1, v13, v1
	v_mul_hi_u32 v3, v1, v34
	v_ashrrev_i32_e32 v0, 31, v13
	v_xor_b32_e32 v0, s24, v0
	v_mul_lo_u32 v5, v3, s22
	v_sub_u32_e32 v1, v1, v5
	v_cmp_le_u32_e64 s[0:1], s22, v1
	v_add_u32_e32 v5, 1, v3
	v_cndmask_b32_e64 v3, v3, v5, s[0:1]
	v_subrev_u32_e32 v5, s22, v1
	v_cndmask_b32_e64 v1, v1, v5, s[0:1]
	v_cmp_le_u32_e64 s[0:1], s22, v1
	v_add_u32_e32 v1, 1, v3
	v_cndmask_b32_e64 v1, v3, v1, s[0:1]
	v_xor_b32_e32 v1, v1, v0
	v_sub_u32_e32 v0, v1, v0
	v_mul_lo_u32 v1, v0, s10
	v_sub_u32_e32 v3, v13, v1
	v_mad_u64_u32 v[0:1], s[0:1], v0, s8, v[3:4]
	v_cmp_gt_i32_e64 s[2:3], s8, v3
	v_cmp_gt_i32_e64 s[4:5], s9, v0
	v_cmp_lt_i32_e64 s[0:1], -1, v0
	s_and_b64 s[2:3], s[2:3], s[4:5]
	s_and_b64 s[0:1], s[2:3], s[0:1]
	s_and_saveexec_b64 s[2:3], s[0:1]
	s_cbranch_execz .LBB0_67
; %bb.66:                               ;   in Loop: Header=BB0_3 Depth=1
	v_mov_b32_e32 v1, v24
	v_lshlrev_b64 v[0:1], 3, v[0:1]
	v_mov_b32_e32 v3, s15
	v_add_co_u32_e64 v0, s[0:1], s14, v0
	v_addc_co_u32_e64 v1, s[0:1], v3, v1, s[0:1]
	global_load_dwordx2 v[0:1], v[0:1], off
	s_waitcnt vmcnt(0)
	buffer_store_dword v0, off, s[28:31], 0 offset:216 ; 4-byte Folded Spill
	s_nop 0
	buffer_store_dword v1, off, s[28:31], 0 offset:220 ; 4-byte Folded Spill
.LBB0_67:                               ;   in Loop: Header=BB0_3 Depth=1
	s_or_b64 exec, exec, s[2:3]
	s_waitcnt vmcnt(0)
	s_barrier
	s_and_saveexec_b64 s[2:3], vcc
	s_cbranch_execz .LBB0_74
; %bb.68:                               ;   in Loop: Header=BB0_3 Depth=1
	s_ashr_i32 s7, s6, 31
	s_lshl_b64 s[0:1], s[6:7], 2
	s_add_u32 s4, s16, s0
	s_addc_u32 s5, s17, s1
	s_branch .LBB0_70
.LBB0_69:                               ;   in Loop: Header=BB0_70 Depth=2
	s_or_b64 exec, exec, s[18:19]
	s_waitcnt vmcnt(0)
	v_readfirstlane_b32 s0, v0
	s_cmp_eq_u32 s0, 0
	s_cbranch_scc0 .LBB0_72
.LBB0_70:                               ;   Parent Loop BB0_3 Depth=1
                                        ; =>  This Inner Loop Header: Depth=2
	v_mbcnt_lo_u32_b32 v0, exec_lo, 0
	v_mbcnt_hi_u32_b32 v0, exec_hi, v0
	v_cmp_eq_u32_e64 s[0:1], 0, v0
                                        ; implicit-def: $vgpr0
	s_and_saveexec_b64 s[18:19], s[0:1]
	s_cbranch_execz .LBB0_69
; %bb.71:                               ;   in Loop: Header=BB0_70 Depth=2
	global_load_dword v0, v24, s[4:5] glc
	s_branch .LBB0_69
.LBB0_72:                               ;   in Loop: Header=BB0_3 Depth=1
	s_mov_b64 s[18:19], exec
	v_mbcnt_lo_u32_b32 v0, s18, 0
	v_mbcnt_hi_u32_b32 v0, s19, v0
	v_cmp_eq_u32_e64 s[0:1], 0, v0
	s_and_b64 s[0:1], exec, s[0:1]
	s_mov_b64 exec, s[0:1]
	s_cbranch_execz .LBB0_74
; %bb.73:                               ;   in Loop: Header=BB0_3 Depth=1
	s_bcnt1_i32_b64 s0, s[18:19]
	v_mov_b32_e32 v0, s0
	global_atomic_add v24, v0, s[4:5] offset:4
.LBB0_74:                               ;   in Loop: Header=BB0_3 Depth=1
	s_or_b64 exec, exec, s[2:3]
	v_cmp_lt_i32_e64 s[0:1], -1, v23
	v_cmp_gt_i32_e64 s[2:3], s9, v23
	s_and_b64 s[0:1], s[0:1], s[2:3]
	s_waitcnt vmcnt(0)
	s_barrier
	s_and_saveexec_b64 s[2:3], s[0:1]
	s_cbranch_execz .LBB0_76
; %bb.75:                               ;   in Loop: Header=BB0_3 Depth=1
	v_lshlrev_b64 v[0:1], 3, v[23:24]
	v_mov_b32_e32 v22, v54
	v_mov_b32_e32 v23, v55
	;; [unrolled: 1-line block ×6, first 2 shown]
	buffer_load_dword v40, off, s[28:31], 0 offset:8 ; 4-byte Folded Reload
	buffer_load_dword v41, off, s[28:31], 0 offset:12 ; 4-byte Folded Reload
	v_mov_b32_e32 v3, s13
	v_add_co_u32_e64 v0, s[0:1], s12, v0
	v_addc_co_u32_e64 v1, s[0:1], v3, v1, s[0:1]
	s_waitcnt vmcnt(0)
	global_store_dwordx2 v[0:1], v[40:41], off
	v_mov_b32_e32 v40, v47
	v_mov_b32_e32 v41, v48
	;; [unrolled: 1-line block ×6, first 2 shown]
.LBB0_76:                               ;   in Loop: Header=BB0_3 Depth=1
	s_or_b64 exec, exec, s[2:3]
	v_mov_b32_e32 v0, v10
	v_cmp_lt_i32_e64 s[0:1], -1, v0
	v_cmp_gt_i32_e64 s[2:3], s9, v0
	s_and_b64 s[0:1], s[0:1], s[2:3]
	s_and_saveexec_b64 s[2:3], s[0:1]
	s_cbranch_execz .LBB0_78
; %bb.77:                               ;   in Loop: Header=BB0_3 Depth=1
	buffer_load_dword v22, off, s[28:31], 0 ; 4-byte Folded Reload
	buffer_load_dword v23, off, s[28:31], 0 offset:4 ; 4-byte Folded Reload
	v_mov_b32_e32 v1, v24
	v_lshlrev_b64 v[0:1], 3, v[0:1]
	v_mov_b32_e32 v3, s13
	v_add_co_u32_e64 v0, s[0:1], s12, v0
	v_addc_co_u32_e64 v1, s[0:1], v3, v1, s[0:1]
	s_waitcnt vmcnt(0)
	global_store_dwordx2 v[0:1], v[22:23], off
.LBB0_78:                               ;   in Loop: Header=BB0_3 Depth=1
	s_or_b64 exec, exec, s[2:3]
	v_cmp_lt_i32_e64 s[0:1], -1, v14
	v_cmp_gt_i32_e64 s[2:3], s9, v14
	s_and_b64 s[0:1], s[0:1], s[2:3]
	s_and_saveexec_b64 s[2:3], s[0:1]
	s_cbranch_execz .LBB0_80
; %bb.79:                               ;   in Loop: Header=BB0_3 Depth=1
	v_mov_b32_e32 v15, v24
	v_lshlrev_b64 v[0:1], 3, v[14:15]
	v_mov_b32_e32 v3, s13
	v_add_co_u32_e64 v0, s[0:1], s12, v0
	v_addc_co_u32_e64 v1, s[0:1], v3, v1, s[0:1]
	global_store_dwordx2 v[0:1], v[47:48], off
.LBB0_80:                               ;   in Loop: Header=BB0_3 Depth=1
	s_or_b64 exec, exec, s[2:3]
	v_cmp_lt_i32_e64 s[0:1], -1, v19
	v_cmp_gt_i32_e64 s[2:3], s9, v19
	s_and_b64 s[0:1], s[0:1], s[2:3]
	s_and_saveexec_b64 s[2:3], s[0:1]
	s_cbranch_execz .LBB0_82
; %bb.81:                               ;   in Loop: Header=BB0_3 Depth=1
	v_mov_b32_e32 v20, v24
	v_lshlrev_b64 v[0:1], 3, v[19:20]
	v_mov_b32_e32 v3, s13
	v_add_co_u32_e64 v0, s[0:1], s12, v0
	v_addc_co_u32_e64 v1, s[0:1], v3, v1, s[0:1]
	global_store_dwordx2 v[0:1], v[40:41], off
.LBB0_82:                               ;   in Loop: Header=BB0_3 Depth=1
	s_or_b64 exec, exec, s[2:3]
	v_cmp_lt_i32_e64 s[0:1], -1, v26
	v_cmp_gt_i32_e64 s[2:3], s9, v26
	s_and_b64 s[0:1], s[0:1], s[2:3]
	s_and_saveexec_b64 s[2:3], s[0:1]
	s_cbranch_execz .LBB0_84
; %bb.83:                               ;   in Loop: Header=BB0_3 Depth=1
	buffer_load_dword v14, off, s[28:31], 0 offset:16 ; 4-byte Folded Reload
	buffer_load_dword v15, off, s[28:31], 0 offset:20 ; 4-byte Folded Reload
	v_mov_b32_e32 v27, v24
	v_lshlrev_b64 v[0:1], 3, v[26:27]
	v_mov_b32_e32 v3, s13
	v_add_co_u32_e64 v0, s[0:1], s12, v0
	v_addc_co_u32_e64 v1, s[0:1], v3, v1, s[0:1]
	s_waitcnt vmcnt(0)
	global_store_dwordx2 v[0:1], v[14:15], off
.LBB0_84:                               ;   in Loop: Header=BB0_3 Depth=1
	s_or_b64 exec, exec, s[2:3]
	v_cmp_lt_i32_e64 s[0:1], -1, v18
	v_cmp_gt_i32_e64 s[2:3], s9, v18
	s_and_b64 s[0:1], s[0:1], s[2:3]
	s_and_saveexec_b64 s[2:3], s[0:1]
	s_cbranch_execz .LBB0_86
; %bb.85:                               ;   in Loop: Header=BB0_3 Depth=1
	v_mov_b32_e32 v19, v24
	v_lshlrev_b64 v[0:1], 3, v[18:19]
	v_mov_b32_e32 v3, s13
	v_add_co_u32_e64 v0, s[0:1], s12, v0
	v_addc_co_u32_e64 v1, s[0:1], v3, v1, s[0:1]
	global_store_dwordx2 v[0:1], v[54:55], off
.LBB0_86:                               ;   in Loop: Header=BB0_3 Depth=1
	s_or_b64 exec, exec, s[2:3]
	v_cmp_lt_i32_e64 s[0:1], -1, v21
	v_cmp_gt_i32_e64 s[2:3], s9, v21
	s_and_b64 s[0:1], s[0:1], s[2:3]
	s_and_saveexec_b64 s[2:3], s[0:1]
	s_cbranch_execz .LBB0_88
; %bb.87:                               ;   in Loop: Header=BB0_3 Depth=1
	buffer_load_dword v14, off, s[28:31], 0 offset:32 ; 4-byte Folded Reload
	buffer_load_dword v15, off, s[28:31], 0 offset:36 ; 4-byte Folded Reload
	v_mov_b32_e32 v22, v24
	v_lshlrev_b64 v[0:1], 3, v[21:22]
	v_mov_b32_e32 v3, s13
	v_add_co_u32_e64 v0, s[0:1], s12, v0
	v_addc_co_u32_e64 v1, s[0:1], v3, v1, s[0:1]
	s_waitcnt vmcnt(0)
	global_store_dwordx2 v[0:1], v[14:15], off
.LBB0_88:                               ;   in Loop: Header=BB0_3 Depth=1
	s_or_b64 exec, exec, s[2:3]
	v_cmp_lt_i32_e64 s[0:1], -1, v25
	v_cmp_gt_i32_e64 s[2:3], s9, v25
	s_and_b64 s[0:1], s[0:1], s[2:3]
	s_and_saveexec_b64 s[2:3], s[0:1]
	s_cbranch_execz .LBB0_90
; %bb.89:                               ;   in Loop: Header=BB0_3 Depth=1
	buffer_load_dword v14, off, s[28:31], 0 offset:24 ; 4-byte Folded Reload
	buffer_load_dword v15, off, s[28:31], 0 offset:28 ; 4-byte Folded Reload
	v_mov_b32_e32 v26, v24
	v_lshlrev_b64 v[0:1], 3, v[25:26]
	v_mov_b32_e32 v3, s13
	v_add_co_u32_e64 v0, s[0:1], s12, v0
	v_addc_co_u32_e64 v1, s[0:1], v3, v1, s[0:1]
	s_waitcnt vmcnt(0)
	global_store_dwordx2 v[0:1], v[14:15], off
.LBB0_90:                               ;   in Loop: Header=BB0_3 Depth=1
	;; [unrolled: 17-line block ×6, first 2 shown]
	s_or_b64 exec, exec, s[2:3]
	v_cmp_lt_i32_e64 s[0:1], -1, v42
	v_cmp_gt_i32_e64 s[2:3], s9, v42
	s_and_b64 s[0:1], s[0:1], s[2:3]
	s_and_saveexec_b64 s[2:3], s[0:1]
	s_cbranch_execz .LBB0_100
; %bb.99:                               ;   in Loop: Header=BB0_3 Depth=1
	buffer_load_dword v14, off, s[28:31], 0 offset:80 ; 4-byte Folded Reload
	buffer_load_dword v15, off, s[28:31], 0 offset:84 ; 4-byte Folded Reload
	v_mov_b32_e32 v43, v24
	v_lshlrev_b64 v[0:1], 3, v[42:43]
	v_mov_b32_e32 v3, s13
	v_add_co_u32_e64 v0, s[0:1], s12, v0
	v_addc_co_u32_e64 v1, s[0:1], v3, v1, s[0:1]
	s_waitcnt vmcnt(0)
	global_store_dwordx2 v[0:1], v[14:15], off
.LBB0_100:                              ;   in Loop: Header=BB0_3 Depth=1
	s_or_b64 exec, exec, s[2:3]
	v_cmp_lt_i32_e64 s[0:1], -1, v46
	v_cmp_gt_i32_e64 s[2:3], s9, v46
	s_and_b64 s[0:1], s[0:1], s[2:3]
	s_and_saveexec_b64 s[2:3], s[0:1]
	s_cbranch_execz .LBB0_102
; %bb.101:                              ;   in Loop: Header=BB0_3 Depth=1
	buffer_load_dword v14, off, s[28:31], 0 offset:72 ; 4-byte Folded Reload
	buffer_load_dword v15, off, s[28:31], 0 offset:76 ; 4-byte Folded Reload
	v_mov_b32_e32 v47, v24
	v_lshlrev_b64 v[0:1], 3, v[46:47]
	v_mov_b32_e32 v3, s13
	v_add_co_u32_e64 v0, s[0:1], s12, v0
	v_addc_co_u32_e64 v1, s[0:1], v3, v1, s[0:1]
	s_waitcnt vmcnt(0)
	global_store_dwordx2 v[0:1], v[14:15], off
.LBB0_102:                              ;   in Loop: Header=BB0_3 Depth=1
	s_or_b64 exec, exec, s[2:3]
	v_cmp_lt_i32_e64 s[0:1], -1, v49
	v_cmp_gt_i32_e64 s[2:3], s9, v49
	s_and_b64 s[0:1], s[0:1], s[2:3]
	s_and_saveexec_b64 s[2:3], s[0:1]
	s_cbranch_execz .LBB0_104
; %bb.103:                              ;   in Loop: Header=BB0_3 Depth=1
	buffer_load_dword v14, off, s[28:31], 0 offset:96 ; 4-byte Folded Reload
	buffer_load_dword v15, off, s[28:31], 0 offset:100 ; 4-byte Folded Reload
	v_mov_b32_e32 v50, v24
	v_lshlrev_b64 v[0:1], 3, v[49:50]
	v_mov_b32_e32 v3, s13
	v_add_co_u32_e64 v0, s[0:1], s12, v0
	v_addc_co_u32_e64 v1, s[0:1], v3, v1, s[0:1]
	s_waitcnt vmcnt(0)
	global_store_dwordx2 v[0:1], v[14:15], off
.LBB0_104:                              ;   in Loop: Header=BB0_3 Depth=1
	;; [unrolled: 17-line block ×5, first 2 shown]
	s_or_b64 exec, exec, s[2:3]
	v_cmp_lt_i32_e64 s[0:1], -1, v2
	v_cmp_gt_i32_e64 s[2:3], s9, v2
	s_and_b64 s[0:1], s[0:1], s[2:3]
	s_and_saveexec_b64 s[2:3], s[0:1]
	s_cbranch_execz .LBB0_112
; %bb.111:                              ;   in Loop: Header=BB0_3 Depth=1
	v_mov_b32_e32 v3, v24
	v_lshlrev_b64 v[0:1], 3, v[2:3]
	v_mov_b32_e32 v2, s13
	v_add_co_u32_e64 v0, s[0:1], s12, v0
	v_addc_co_u32_e64 v1, s[0:1], v2, v1, s[0:1]
	buffer_load_dword v2, off, s[28:31], 0 offset:128 ; 4-byte Folded Reload
	buffer_load_dword v3, off, s[28:31], 0 offset:132 ; 4-byte Folded Reload
	s_waitcnt vmcnt(0)
	global_store_dwordx2 v[0:1], v[2:3], off
.LBB0_112:                              ;   in Loop: Header=BB0_3 Depth=1
	s_or_b64 exec, exec, s[2:3]
	v_cmp_lt_i32_e64 s[0:1], -1, v16
	v_cmp_gt_i32_e64 s[2:3], s9, v16
	s_and_b64 s[0:1], s[0:1], s[2:3]
	s_and_saveexec_b64 s[2:3], s[0:1]
	s_cbranch_execz .LBB0_114
; %bb.113:                              ;   in Loop: Header=BB0_3 Depth=1
	v_mov_b32_e32 v17, v24
	v_lshlrev_b64 v[0:1], 3, v[16:17]
	v_mov_b32_e32 v2, s13
	v_add_co_u32_e64 v0, s[0:1], s12, v0
	v_addc_co_u32_e64 v1, s[0:1], v2, v1, s[0:1]
	buffer_load_dword v2, off, s[28:31], 0 offset:120 ; 4-byte Folded Reload
	buffer_load_dword v3, off, s[28:31], 0 offset:124 ; 4-byte Folded Reload
	s_waitcnt vmcnt(0)
	global_store_dwordx2 v[0:1], v[2:3], off
.LBB0_114:                              ;   in Loop: Header=BB0_3 Depth=1
	;; [unrolled: 17-line block ×9, first 2 shown]
	s_or_b64 exec, exec, s[2:3]
	v_cmp_lt_i32_e64 s[0:1], -1, v7
	v_cmp_gt_i32_e64 s[2:3], s9, v7
	s_and_b64 s[0:1], s[0:1], s[2:3]
	s_and_saveexec_b64 s[2:3], s[0:1]
	s_cbranch_execz .LBB0_130
; %bb.129:                              ;   in Loop: Header=BB0_3 Depth=1
	v_mov_b32_e32 v2, v8
	v_mov_b32_e32 v8, v24
	v_lshlrev_b64 v[0:1], 3, v[7:8]
	v_mov_b32_e32 v8, v2
	v_mov_b32_e32 v2, s13
	v_add_co_u32_e64 v0, s[0:1], s12, v0
	v_addc_co_u32_e64 v1, s[0:1], v2, v1, s[0:1]
	buffer_load_dword v2, off, s[28:31], 0 offset:184 ; 4-byte Folded Reload
	buffer_load_dword v3, off, s[28:31], 0 offset:188 ; 4-byte Folded Reload
	s_waitcnt vmcnt(0)
	global_store_dwordx2 v[0:1], v[2:3], off
.LBB0_130:                              ;   in Loop: Header=BB0_3 Depth=1
	s_or_b64 exec, exec, s[2:3]
	v_cmp_lt_i32_e64 s[0:1], -1, v4
	v_cmp_gt_i32_e64 s[2:3], s9, v4
	s_and_b64 s[0:1], s[0:1], s[2:3]
	s_and_saveexec_b64 s[2:3], s[0:1]
	s_cbranch_execz .LBB0_132
; %bb.131:                              ;   in Loop: Header=BB0_3 Depth=1
	v_mov_b32_e32 v5, v24
	v_lshlrev_b64 v[0:1], 3, v[4:5]
	v_mov_b32_e32 v2, s13
	v_add_co_u32_e64 v0, s[0:1], s12, v0
	v_addc_co_u32_e64 v1, s[0:1], v2, v1, s[0:1]
	buffer_load_dword v2, off, s[28:31], 0 offset:208 ; 4-byte Folded Reload
	buffer_load_dword v3, off, s[28:31], 0 offset:212 ; 4-byte Folded Reload
	s_waitcnt vmcnt(0)
	global_store_dwordx2 v[0:1], v[2:3], off
.LBB0_132:                              ;   in Loop: Header=BB0_3 Depth=1
	s_or_b64 exec, exec, s[2:3]
	v_cmp_lt_i32_e64 s[0:1], -1, v6
	v_cmp_gt_i32_e64 s[2:3], s9, v6
	s_and_b64 s[0:1], s[0:1], s[2:3]
	s_and_saveexec_b64 s[2:3], s[0:1]
	s_cbranch_execz .LBB0_134
; %bb.133:                              ;   in Loop: Header=BB0_3 Depth=1
	v_mov_b32_e32 v7, v24
	v_lshlrev_b64 v[0:1], 3, v[6:7]
	v_mov_b32_e32 v2, s13
	v_add_co_u32_e64 v0, s[0:1], s12, v0
	v_addc_co_u32_e64 v1, s[0:1], v2, v1, s[0:1]
	buffer_load_dword v2, off, s[28:31], 0 offset:200 ; 4-byte Folded Reload
	buffer_load_dword v3, off, s[28:31], 0 offset:204 ; 4-byte Folded Reload
	s_waitcnt vmcnt(0)
	global_store_dwordx2 v[0:1], v[2:3], off
.LBB0_134:                              ;   in Loop: Header=BB0_3 Depth=1
	;; [unrolled: 17-line block ×3, first 2 shown]
	s_or_b64 exec, exec, s[2:3]
	v_cmp_lt_i32_e64 s[0:1], -1, v13
	v_cmp_gt_i32_e64 s[2:3], s9, v13
	s_and_b64 s[0:1], s[0:1], s[2:3]
	s_and_saveexec_b64 s[2:3], s[0:1]
	s_cbranch_execz .LBB0_2
; %bb.137:                              ;   in Loop: Header=BB0_3 Depth=1
	v_mov_b32_e32 v14, v24
	v_lshlrev_b64 v[0:1], 3, v[13:14]
	v_mov_b32_e32 v2, s13
	v_add_co_u32_e64 v0, s[0:1], s12, v0
	v_addc_co_u32_e64 v1, s[0:1], v2, v1, s[0:1]
	buffer_load_dword v2, off, s[28:31], 0 offset:216 ; 4-byte Folded Reload
	buffer_load_dword v3, off, s[28:31], 0 offset:220 ; 4-byte Folded Reload
	s_waitcnt vmcnt(0)
	global_store_dwordx2 v[0:1], v[2:3], off
	s_branch .LBB0_2
.LBB0_138:
	s_endpgm
	.section	.rodata,"a",@progbits
	.p2align	6, 0x0
	.amdhsa_kernel _Z14Padding_kerneliiiifPdPKdPi
		.amdhsa_group_segment_fixed_size 0
		.amdhsa_private_segment_fixed_size 236
		.amdhsa_kernarg_size 304
		.amdhsa_user_sgpr_count 6
		.amdhsa_user_sgpr_private_segment_buffer 1
		.amdhsa_user_sgpr_dispatch_ptr 0
		.amdhsa_user_sgpr_queue_ptr 0
		.amdhsa_user_sgpr_kernarg_segment_ptr 1
		.amdhsa_user_sgpr_dispatch_id 0
		.amdhsa_user_sgpr_flat_scratch_init 0
		.amdhsa_user_sgpr_private_segment_size 0
		.amdhsa_uses_dynamic_stack 0
		.amdhsa_system_sgpr_private_segment_wavefront_offset 1
		.amdhsa_system_sgpr_workgroup_id_x 1
		.amdhsa_system_sgpr_workgroup_id_y 0
		.amdhsa_system_sgpr_workgroup_id_z 0
		.amdhsa_system_sgpr_workgroup_info 0
		.amdhsa_system_vgpr_workitem_id 0
		.amdhsa_next_free_vgpr 64
		.amdhsa_next_free_sgpr 32
		.amdhsa_reserve_vcc 1
		.amdhsa_reserve_flat_scratch 0
		.amdhsa_float_round_mode_32 0
		.amdhsa_float_round_mode_16_64 0
		.amdhsa_float_denorm_mode_32 3
		.amdhsa_float_denorm_mode_16_64 3
		.amdhsa_dx10_clamp 1
		.amdhsa_ieee_mode 1
		.amdhsa_fp16_overflow 0
		.amdhsa_exception_fp_ieee_invalid_op 0
		.amdhsa_exception_fp_denorm_src 0
		.amdhsa_exception_fp_ieee_div_zero 0
		.amdhsa_exception_fp_ieee_overflow 0
		.amdhsa_exception_fp_ieee_underflow 0
		.amdhsa_exception_fp_ieee_inexact 0
		.amdhsa_exception_int_div_zero 0
	.end_amdhsa_kernel
	.text
.Lfunc_end0:
	.size	_Z14Padding_kerneliiiifPdPKdPi, .Lfunc_end0-_Z14Padding_kerneliiiifPdPKdPi
                                        ; -- End function
	.set _Z14Padding_kerneliiiifPdPKdPi.num_vgpr, 64
	.set _Z14Padding_kerneliiiifPdPKdPi.num_agpr, 0
	.set _Z14Padding_kerneliiiifPdPKdPi.numbered_sgpr, 32
	.set _Z14Padding_kerneliiiifPdPKdPi.num_named_barrier, 0
	.set _Z14Padding_kerneliiiifPdPKdPi.private_seg_size, 236
	.set _Z14Padding_kerneliiiifPdPKdPi.uses_vcc, 1
	.set _Z14Padding_kerneliiiifPdPKdPi.uses_flat_scratch, 0
	.set _Z14Padding_kerneliiiifPdPKdPi.has_dyn_sized_stack, 0
	.set _Z14Padding_kerneliiiifPdPKdPi.has_recursion, 0
	.set _Z14Padding_kerneliiiifPdPKdPi.has_indirect_call, 0
	.section	.AMDGPU.csdata,"",@progbits
; Kernel info:
; codeLenInByte = 11476
; TotalNumSgprs: 36
; NumVgprs: 64
; ScratchSize: 236
; MemoryBound: 0
; FloatMode: 240
; IeeeMode: 1
; LDSByteSize: 0 bytes/workgroup (compile time only)
; SGPRBlocks: 4
; VGPRBlocks: 15
; NumSGPRsForWavesPerEU: 36
; NumVGPRsForWavesPerEU: 64
; Occupancy: 4
; WaveLimiterHint : 0
; COMPUTE_PGM_RSRC2:SCRATCH_EN: 1
; COMPUTE_PGM_RSRC2:USER_SGPR: 6
; COMPUTE_PGM_RSRC2:TRAP_HANDLER: 0
; COMPUTE_PGM_RSRC2:TGID_X_EN: 1
; COMPUTE_PGM_RSRC2:TGID_Y_EN: 0
; COMPUTE_PGM_RSRC2:TGID_Z_EN: 0
; COMPUTE_PGM_RSRC2:TIDIG_COMP_CNT: 0
	.section	.AMDGPU.gpr_maximums,"",@progbits
	.set amdgpu.max_num_vgpr, 0
	.set amdgpu.max_num_agpr, 0
	.set amdgpu.max_num_sgpr, 0
	.section	.AMDGPU.csdata,"",@progbits
	.type	__hip_cuid_a8f69140953c50fe,@object ; @__hip_cuid_a8f69140953c50fe
	.section	.bss,"aw",@nobits
	.globl	__hip_cuid_a8f69140953c50fe
__hip_cuid_a8f69140953c50fe:
	.byte	0                               ; 0x0
	.size	__hip_cuid_a8f69140953c50fe, 1

	.ident	"AMD clang version 22.0.0git (https://github.com/RadeonOpenCompute/llvm-project roc-7.2.4 26084 f58b06dce1f9c15707c5f808fd002e18c2accf7e)"
	.section	".note.GNU-stack","",@progbits
	.addrsig
	.addrsig_sym __hip_cuid_a8f69140953c50fe
	.amdgpu_metadata
---
amdhsa.kernels:
  - .args:
      - .offset:         0
        .size:           4
        .value_kind:     by_value
      - .offset:         4
        .size:           4
        .value_kind:     by_value
      - .offset:         8
        .size:           4
        .value_kind:     by_value
      - .offset:         12
        .size:           4
        .value_kind:     by_value
      - .offset:         16
        .size:           4
        .value_kind:     by_value
      - .actual_access:  write_only
        .address_space:  global
        .offset:         24
        .size:           8
        .value_kind:     global_buffer
      - .address_space:  global
        .offset:         32
        .size:           8
        .value_kind:     global_buffer
      - .address_space:  global
        .offset:         40
        .size:           8
        .value_kind:     global_buffer
      - .offset:         48
        .size:           4
        .value_kind:     hidden_block_count_x
      - .offset:         52
        .size:           4
        .value_kind:     hidden_block_count_y
      - .offset:         56
        .size:           4
        .value_kind:     hidden_block_count_z
      - .offset:         60
        .size:           2
        .value_kind:     hidden_group_size_x
      - .offset:         62
        .size:           2
        .value_kind:     hidden_group_size_y
      - .offset:         64
        .size:           2
        .value_kind:     hidden_group_size_z
      - .offset:         66
        .size:           2
        .value_kind:     hidden_remainder_x
      - .offset:         68
        .size:           2
        .value_kind:     hidden_remainder_y
      - .offset:         70
        .size:           2
        .value_kind:     hidden_remainder_z
      - .offset:         88
        .size:           8
        .value_kind:     hidden_global_offset_x
      - .offset:         96
        .size:           8
        .value_kind:     hidden_global_offset_y
      - .offset:         104
        .size:           8
        .value_kind:     hidden_global_offset_z
      - .offset:         112
        .size:           2
        .value_kind:     hidden_grid_dims
    .group_segment_fixed_size: 0
    .kernarg_segment_align: 8
    .kernarg_segment_size: 304
    .language:       OpenCL C
    .language_version:
      - 2
      - 0
    .max_flat_workgroup_size: 1024
    .name:           _Z14Padding_kerneliiiifPdPKdPi
    .private_segment_fixed_size: 236
    .sgpr_count:     36
    .sgpr_spill_count: 0
    .symbol:         _Z14Padding_kerneliiiifPdPKdPi.kd
    .uniform_work_group_size: 1
    .uses_dynamic_stack: false
    .vgpr_count:     64
    .vgpr_spill_count: 116
    .wavefront_size: 64
amdhsa.target:   amdgcn-amd-amdhsa--gfx906
amdhsa.version:
  - 1
  - 2
...

	.end_amdgpu_metadata
